;; amdgpu-corpus repo=ROCm/Tensile kind=harvested arch=n/a opt=n/a

/******************************************/
/* Function Prefix                        */
/******************************************/



/******************************************/
/* Begin Kernel                           */
/******************************************/

// Component.Signature.SignatureDefault
.amdgcn_target "amdgcn-amd-amdhsa--gfx90a"
.text
.protected Cijk_Ailk_Bjlk_HHS_BHR_MT64x64x16_MI32x32x8x1_SN_1LDSB0_AF0EM1_AF1EM1_AMAS0_ASE_ASLT_ASEM1_BL1_EPS0_GLVWA4_GLVWB4_GRVW8_GSU1_GSUASB_ISA90a_IU1_K1_KLA_LBSPPB0_LPA0_LPB0_LDL1_LRVW4_LDW0_FMA_MIAV1_MMFGLC_NTC0_NTD0_NEPBS16_NLCA1_NLCB1_PGR2_PLR2_SIA3_SS1_SU0_SUM0_SUS0_SPO0_SRVW0_SSO0_SVW1_TT1_32_TLDS0_UMLDSB0_USFGROn1_VAW1_VSn1_VW1_VWB1_WSGRA1_WSGRB1_WG64_4_1_WGM2
.globl Cijk_Ailk_Bjlk_HHS_BHR_MT64x64x16_MI32x32x8x1_SN_1LDSB0_AF0EM1_AF1EM1_AMAS0_ASE_ASLT_ASEM1_BL1_EPS0_GLVWA4_GLVWB4_GRVW8_GSU1_GSUASB_ISA90a_IU1_K1_KLA_LBSPPB0_LPA0_LPB0_LDL1_LRVW4_LDW0_FMA_MIAV1_MMFGLC_NTC0_NTD0_NEPBS16_NLCA1_NLCB1_PGR2_PLR2_SIA3_SS1_SU0_SUM0_SUS0_SPO0_SRVW0_SSO0_SVW1_TT1_32_TLDS0_UMLDSB0_USFGROn1_VAW1_VSn1_VW1_VWB1_WSGRA1_WSGRB1_WG64_4_1_WGM2
.p2align 8
.type Cijk_Ailk_Bjlk_HHS_BHR_MT64x64x16_MI32x32x8x1_SN_1LDSB0_AF0EM1_AF1EM1_AMAS0_ASE_ASLT_ASEM1_BL1_EPS0_GLVWA4_GLVWB4_GRVW8_GSU1_GSUASB_ISA90a_IU1_K1_KLA_LBSPPB0_LPA0_LPB0_LDL1_LRVW4_LDW0_FMA_MIAV1_MMFGLC_NTC0_NTD0_NEPBS16_NLCA1_NLCB1_PGR2_PLR2_SIA3_SS1_SU0_SUM0_SUS0_SPO0_SRVW0_SSO0_SVW1_TT1_32_TLDS0_UMLDSB0_USFGROn1_VAW1_VSn1_VW1_VWB1_WSGRA1_WSGRB1_WG64_4_1_WGM2,@function
.section .rodata,#alloc
.p2align 6
.amdhsa_kernel Cijk_Ailk_Bjlk_HHS_BHR_MT64x64x16_MI32x32x8x1_SN_1LDSB0_AF0EM1_AF1EM1_AMAS0_ASE_ASLT_ASEM1_BL1_EPS0_GLVWA4_GLVWB4_GRVW8_GSU1_GSUASB_ISA90a_IU1_K1_KLA_LBSPPB0_LPA0_LPB0_LDL1_LRVW4_LDW0_FMA_MIAV1_MMFGLC_NTC0_NTD0_NEPBS16_NLCA1_NLCB1_PGR2_PLR2_SIA3_SS1_SU0_SUM0_SUS0_SPO0_SRVW0_SSO0_SVW1_TT1_32_TLDS0_UMLDSB0_USFGROn1_VAW1_VSn1_VW1_VWB1_WSGRA1_WSGRB1_WG64_4_1_WGM2
  .amdhsa_user_sgpr_kernarg_segment_ptr 1
  .amdhsa_user_sgpr_kernarg_preload_offset 0
  .amdhsa_user_sgpr_kernarg_preload_length 0
  .amdhsa_user_sgpr_count 2
  .amdhsa_accum_offset 64 // accvgpr offset
  .amdhsa_next_free_vgpr 64 // vgprs
  .amdhsa_next_free_sgpr 58 // sgprs
  .amdhsa_group_segment_fixed_size 8192 // lds bytes
  .amdhsa_private_segment_fixed_size 0
  .amdhsa_system_sgpr_workgroup_id_x 1
  .amdhsa_system_sgpr_workgroup_id_y 1
  .amdhsa_system_sgpr_workgroup_id_z 1
  .amdhsa_system_vgpr_workitem_id 0
  .amdhsa_float_denorm_mode_32 3
  .amdhsa_float_denorm_mode_16_64 3
.end_amdhsa_kernel
.text

/******************************************/
/* Optimizations and Config:              */
/******************************************/
/* ThreadTile= 16 x 1 */
/* SubGroup= 4 x 64 */
/* VectorWidthA=1 */
/* VectorWidthB=1 */
/* GlobalLoadVectorWidthA=4, GlobalLoadVectorWidthB=4 */
/* DirectToLdsA=False */
/* DirectToLdsB=False */
/* UseSgprForGRO=False */
.amdgpu_metadata
---
amdhsa.version:
  - 1
  - 1
amdhsa.target: amdgcn-amd-amdhsa--gfx90a
amdhsa.kernels:
  - .name: Cijk_Ailk_Bjlk_HHS_BHR_MT64x64x16_MI32x32x8x1_SN_1LDSB0_AF0EM1_AF1EM1_AMAS0_ASE_ASLT_ASEM1_BL1_EPS0_GLVWA4_GLVWB4_GRVW8_GSU1_GSUASB_ISA90a_IU1_K1_KLA_LBSPPB0_LPA0_LPB0_LDL1_LRVW4_LDW0_FMA_MIAV1_MMFGLC_NTC0_NTD0_NEPBS16_NLCA1_NLCB1_PGR2_PLR2_SIA3_SS1_SU0_SUM0_SUS0_SPO0_SRVW0_SSO0_SVW1_TT1_32_TLDS0_UMLDSB0_USFGROn1_VAW1_VSn1_VW1_VWB1_WSGRA1_WSGRB1_WG64_4_1_WGM2
    .symbol: 'Cijk_Ailk_Bjlk_HHS_BHR_MT64x64x16_MI32x32x8x1_SN_1LDSB0_AF0EM1_AF1EM1_AMAS0_ASE_ASLT_ASEM1_BL1_EPS0_GLVWA4_GLVWB4_GRVW8_GSU1_GSUASB_ISA90a_IU1_K1_KLA_LBSPPB0_LPA0_LPB0_LDL1_LRVW4_LDW0_FMA_MIAV1_MMFGLC_NTC0_NTD0_NEPBS16_NLCA1_NLCB1_PGR2_PLR2_SIA3_SS1_SU0_SUM0_SUS0_SPO0_SRVW0_SSO0_SVW1_TT1_32_TLDS0_UMLDSB0_USFGROn1_VAW1_VSn1_VW1_VWB1_WSGRA1_WSGRB1_WG64_4_1_WGM2.kd'
    .language:                   OpenCL C
    .language_version:
      - 2
      - 0
    .args:
      - .name:            Tensor2dSizeA
        .size:            8
        .offset:          0
        .value_kind:      by_value
        .value_type:      u64
      - .name:            Tensor2dSizeB
        .size:            8
        .offset:          8
        .value_kind:      by_value
        .value_type:      u64
      - .name:            AddressD
        .size:            8
        .offset:          16
        .value_kind:      by_value
        .value_type:      u64
      - .name:            AddressC
        .size:            8
        .offset:          24
        .value_kind:      by_value
        .value_type:      u64
      - .name:            AddressA
        .size:            8
        .offset:          32
        .value_kind:      by_value
        .value_type:      u64
      - .name:            AddressB
        .size:            8
        .offset:          40
        .value_kind:      by_value
        .value_type:      u64
      - .name:            Alpha
        .size:            4
        .offset:          48
        .value_kind:      by_value
        .value_type:      u32
      - .name:            Beta
        .size:            4
        .offset:          52
        .value_kind:      by_value
        .value_type:      u32
      - .name:            StridesD
        .size:            8
        .offset:          56
        .value_kind:      by_value
        .value_type:      u64
      - .name:            StridesC
        .size:            8
        .offset:          64
        .value_kind:      by_value
        .value_type:      u64
      - .name:            StridesA
        .size:            8
        .offset:          72
        .value_kind:      by_value
        .value_type:      u64
      - .name:            StridesB
        .size:            8
        .offset:          80
        .value_kind:      by_value
        .value_type:      u64
      - .name:            SizesFree
        .size:            12
        .offset:          88
        .value_kind:      by_value
        .value_type:      u96
      - .name:            SizesSum
        .size:            4
        .offset:          100
        .value_kind:      by_value
        .value_type:      u32
      - .name:            NumWorkGroups0
        .size:            4
        .offset:          104
        .value_kind:      by_value
        .value_type:      u32
      - .name:            NumWorkGroups1
        .size:            4
        .offset:          108
        .value_kind:      by_value
        .value_type:      u32
      - .name:            NumFullBlocks
        .size:            4
        .offset:          112
        .value_kind:      by_value
        .value_type:      u32
      - .name:            WgmRemainder1
        .size:            4
        .offset:          116
        .value_kind:      by_value
        .value_type:      u32
      - .name:            MagicNumberWgmRemainder1
        .size:            4
        .offset:          120
        .value_kind:      by_value
        .value_type:      u32
    .group_segment_fixed_size:   8192
    .kernarg_segment_align:      8
    .kernarg_segment_size:       128
    .max_flat_workgroup_size:    256
    .private_segment_fixed_size: 0
    .sgpr_count:                 58
    .sgpr_spill_count:           0
    .vgpr_count:                 64
    .vgpr_spill_count:           0
    .wavefront_size:             64
...
.end_amdgpu_metadata
Cijk_Ailk_Bjlk_HHS_BHR_MT64x64x16_MI32x32x8x1_SN_1LDSB0_AF0EM1_AF1EM1_AMAS0_ASE_ASLT_ASEM1_BL1_EPS0_GLVWA4_GLVWB4_GRVW8_GSU1_GSUASB_ISA90a_IU1_K1_KLA_LBSPPB0_LPA0_LPB0_LDL1_LRVW4_LDW0_FMA_MIAV1_MMFGLC_NTC0_NTD0_NEPBS16_NLCA1_NLCB1_PGR2_PLR2_SIA3_SS1_SU0_SUM0_SUS0_SPO0_SRVW0_SSO0_SVW1_TT1_32_TLDS0_UMLDSB0_USFGROn1_VAW1_VSn1_VW1_VWB1_WSGRA1_WSGRB1_WG64_4_1_WGM2:

/******************************************/
/* Asm syntax workarounds                 */
/******************************************/
.macro _v_add_co_u32 dst:req, cc:req, src0:req, src1:req, dpp=
   v_add_co_u32 \dst, \cc, \src0, \src1 \dpp
.endm

.macro _v_add_u32 dst:req, src0:req, src1:req, dpp=
   v_add_u32 \dst, \src0, \src1 \dpp
.endm

.macro _v_add_i32 dst:req, src0:req, src1:req, dpp=
   v_add_i32 \dst, \src0, \src1 \dpp
.endm

.macro _v_addc_co_u32 dst:req, ccOut:req, src0:req, ccIn:req, src1:req, dpp=
   v_addc_co_u32 \dst, \ccOut, \src0, \ccIn, \src1 \dpp
.endm

.macro _v_sub_co_u32 dst:req, cc:req, src0:req, src1:req, dpp=
   v_sub_co_u32 \dst, \cc, \src0, \src1 \dpp
.endm

.macro _v_sub_u32 dst:req, src0:req, src1:req, dpp=
   v_sub_u32 \dst, \src0, \src1 \dpp
.endm

.macro _v_sub_i32 dst:req, src0:req, src1:req, dpp=
   v_sub_i32 \dst, \src0, \src1 \dpp
.endm

.macro _v_add_lshl_u32 dst:req, src0:req, src1:req, shiftCnt:req
    v_add_lshl_u32 \dst, \src0, \src1, \shiftCnt
.endm

.macro _v_lshl_add_u32 dst:req, src0:req, src1:req, shiftCnt:req
    v_lshl_add_u32 \dst, \src0, \src1, \shiftCnt
.endm

.macro _v_lshl_or_b32 dst:req, src0:req, shiftCnt:req, src1:req
    v_lshl_or_b32 \dst, \src0, \shiftCnt, \src1
.endm

.macro _v_dot2acc_f32_f16 dst, src0, src1
v_dot2c_f32_f16 \dst, \src0, \src1
.endm

.macro _v_cmpx_lt_i16 dst, src0, src1=
   v_cmpx_lt_i16 \dst, \src0, \src1 
.endm

.macro _v_cmpx_lt_i32 dst, src0, src1=
   v_cmpx_lt_i32 \dst, \src0, \src1 
.endm

.macro _v_cmpx_lt_i64 dst, src0, src1=
   v_cmpx_lt_i64 \dst, \src0, \src1 
.endm

.macro _v_cmpx_lt_u16 dst, src0, src1=
   v_cmpx_lt_u16 \dst, \src0, \src1 
.endm

.macro _v_cmpx_lt_u32 dst, src0, src1=
   v_cmpx_lt_u32 \dst, \src0, \src1 
.endm

.macro _v_cmpx_lt_u64 dst, src0, src1=
   v_cmpx_lt_u64 \dst, \src0, \src1 
.endm

.macro _v_cmpx_eq_i16 dst, src0, src1=
   v_cmpx_eq_i16 \dst, \src0, \src1 
.endm

.macro _v_cmpx_eq_i32 dst, src0, src1=
   v_cmpx_eq_i32 \dst, \src0, \src1 
.endm

.macro _v_cmpx_eq_i64 dst, src0, src1=
   v_cmpx_eq_i64 \dst, \src0, \src1 
.endm

.macro _v_cmpx_eq_u16 dst, src0, src1=
   v_cmpx_eq_u16 \dst, \src0, \src1 
.endm

.macro _v_cmpx_eq_u32 dst, src0, src1=
   v_cmpx_eq_u32 \dst, \src0, \src1 
.endm

.macro _v_cmpx_eq_u64 dst, src0, src1=
   v_cmpx_eq_u64 \dst, \src0, \src1 
.endm

.macro _v_cmpx_le_i16 dst, src0, src1=
   v_cmpx_le_i16 \dst, \src0, \src1 
.endm

.macro _v_cmpx_le_i32 dst, src0, src1=
   v_cmpx_le_i32 \dst, \src0, \src1 
.endm

.macro _v_cmpx_le_i64 dst, src0, src1=
   v_cmpx_le_i64 \dst, \src0, \src1 
.endm

.macro _v_cmpx_le_u16 dst, src0, src1=
   v_cmpx_le_u16 \dst, \src0, \src1 
.endm

.macro _v_cmpx_le_u32 dst, src0, src1=
   v_cmpx_le_u32 \dst, \src0, \src1 
.endm

.macro _v_cmpx_le_u64 dst, src0, src1=
   v_cmpx_le_u64 \dst, \src0, \src1 
.endm

.macro _v_cmpx_gt_i16 dst, src0, src1=
   v_cmpx_gt_i16 \dst, \src0, \src1 
.endm

.macro _v_cmpx_gt_i32 dst, src0, src1=
   v_cmpx_gt_i32 \dst, \src0, \src1 
.endm

.macro _v_cmpx_gt_i64 dst, src0, src1=
   v_cmpx_gt_i64 \dst, \src0, \src1 
.endm

.macro _v_cmpx_gt_u16 dst, src0, src1=
   v_cmpx_gt_u16 \dst, \src0, \src1 
.endm

.macro _v_cmpx_gt_u32 dst, src0, src1=
   v_cmpx_gt_u32 \dst, \src0, \src1 
.endm

.macro _v_cmpx_gt_u64 dst, src0, src1=
   v_cmpx_gt_u64 \dst, \src0, \src1 
.endm

.macro _v_cmpx_ne_i16 dst, src0, src1=
   v_cmpx_ne_i16 \dst, \src0, \src1 
.endm

.macro _v_cmpx_ne_i32 dst, src0, src1=
   v_cmpx_ne_i32 \dst, \src0, \src1 
.endm

.macro _v_cmpx_ne_i64 dst, src0, src1=
   v_cmpx_ne_i64 \dst, \src0, \src1 
.endm

.macro _v_cmpx_ne_u16 dst, src0, src1=
   v_cmpx_ne_u16 \dst, \src0, \src1 
.endm

.macro _v_cmpx_ne_u32 dst, src0, src1=
   v_cmpx_ne_u32 \dst, \src0, \src1 
.endm

.macro _v_cmpx_ne_u64 dst, src0, src1=
   v_cmpx_ne_u64 \dst, \src0, \src1 
.endm

.macro _v_cmpx_lg_i16 dst, src0, src1=
   v_cmpx_lg_i16 \dst, \src0, \src1 
.endm

.macro _v_cmpx_lg_i32 dst, src0, src1=
   v_cmpx_lg_i32 \dst, \src0, \src1 
.endm

.macro _v_cmpx_lg_i64 dst, src0, src1=
   v_cmpx_lg_i64 \dst, \src0, \src1 
.endm

.macro _v_cmpx_lg_u16 dst, src0, src1=
   v_cmpx_lg_u16 \dst, \src0, \src1 
.endm

.macro _v_cmpx_lg_u32 dst, src0, src1=
   v_cmpx_lg_u32 \dst, \src0, \src1 
.endm

.macro _v_cmpx_lg_u64 dst, src0, src1=
   v_cmpx_lg_u64 \dst, \src0, \src1 
.endm

.macro _v_cmpx_ge_i16 dst, src0, src1=
   v_cmpx_ge_i16 \dst, \src0, \src1 
.endm

.macro _v_cmpx_ge_i32 dst, src0, src1=
   v_cmpx_ge_i32 \dst, \src0, \src1 
.endm

.macro _v_cmpx_ge_i64 dst, src0, src1=
   v_cmpx_ge_i64 \dst, \src0, \src1 
.endm

.macro _v_cmpx_ge_u16 dst, src0, src1=
   v_cmpx_ge_u16 \dst, \src0, \src1 
.endm

.macro _v_cmpx_ge_u32 dst, src0, src1=
   v_cmpx_ge_u32 \dst, \src0, \src1 
.endm

.macro _v_cmpx_ge_u64 dst, src0, src1=
   v_cmpx_ge_u64 \dst, \src0, \src1 
.endm

.macro _v_cmpx_o_i16 dst, src0, src1=
   v_cmpx_o_i16 \dst, \src0, \src1 
.endm

.macro _v_cmpx_o_i32 dst, src0, src1=
   v_cmpx_o_i32 \dst, \src0, \src1 
.endm

.macro _v_cmpx_o_i64 dst, src0, src1=
   v_cmpx_o_i64 \dst, \src0, \src1 
.endm

.macro _v_cmpx_o_u16 dst, src0, src1=
   v_cmpx_o_u16 \dst, \src0, \src1 
.endm

.macro _v_cmpx_o_u32 dst, src0, src1=
   v_cmpx_o_u32 \dst, \src0, \src1 
.endm

.macro _v_cmpx_o_u64 dst, src0, src1=
   v_cmpx_o_u64 \dst, \src0, \src1 
.endm

.macro _v_cmpx_u_i16 dst, src0, src1=
   v_cmpx_u_i16 \dst, \src0, \src1 
.endm

.macro _v_cmpx_u_i32 dst, src0, src1=
   v_cmpx_u_i32 \dst, \src0, \src1 
.endm

.macro _v_cmpx_u_i64 dst, src0, src1=
   v_cmpx_u_i64 \dst, \src0, \src1 
.endm

.macro _v_cmpx_u_u16 dst, src0, src1=
   v_cmpx_u_u16 \dst, \src0, \src1 
.endm

.macro _v_cmpx_u_u32 dst, src0, src1=
   v_cmpx_u_u32 \dst, \src0, \src1 
.endm

.macro _v_cmpx_u_u64 dst, src0, src1=
   v_cmpx_u_u64 \dst, \src0, \src1 
.endm
.macro _v_mac_f32 c:req, a:req, b:req
    v_fmac_f32 \c, \a, \b
.endmacro

/* scale global load macros */
.macro _s_load_b32 dst base offset
    s_load_dword \dst \base \offset
.endm

.macro _s_load_b64 dst base offset
    s_load_dwordx2 \dst \base \offset
.endm

.macro _s_load_b128 dst base offset
    s_load_dwordx4 \dst \base \offset
.endm

.macro _s_load_b256 dst base offset
    s_load_dwordx8 \dst \base \offset
.endm

.macro _s_load_b512 dst base offset
    s_load_dwordx16 \dst \base \offset
.endm


/* ds operation macros */
.macro _ds_load_u8 dst src offset
    ds_read_u8 \dst \src \offset
.endm

.macro _ds_load_u8_d16_hi dst src offset
    ds_read_u8_d16_hi \dst \src \offset
.endm

.macro _ds_load_u16 dst src offset
    ds_read_u16 \dst \src \offset
.endm

.macro _ds_load_u16_d16_hi dst src offset
    ds_read_u16_d16_hi \dst \src \offset
.endm

.macro _ds_load_b32 dst src offset
    ds_read_b32 \dst \src \offset
.endm

.macro _ds_load_b64 dst src offset
    ds_read_b64 \dst \src \offset
.endm

.macro _ds_load_b128 dst src offset
    ds_read_b128 \dst \src \offset
.endm

.macro _ds_store_b8 dst src offset
    ds_write_b8 \dst \src \offset
.endm

.macro _ds_store_b8_d16_hi dst src offset
    ds_write_b8_d16_hi \dst \src \offset
.endm

.macro _ds_store_b16 dst src offset
    ds_write_b16 \dst \src \offset
.endm

.macro _ds_store_b16_d16_hi dst src offset
    ds_write_b16_d16_hi \dst \src \offset
.endm

.macro _ds_store_b32 dst src offset
    ds_write_b32 \dst \src \offset
.endm

.macro _ds_store_b64 dst src offset
    ds_write_b64 \dst \src \offset
.endm

.macro _ds_store_b128 dst src offset
    ds_write_b128 \dst \src \offset
.endm

.macro _ds_load2_b32 dst src offset1 offset2
    ds_read2_b32 \dst \src \offset1 \offset2
.endm

.macro _ds_load2_b64 dst src offset1 offset2
    ds_read2_b64 \dst \src \offset1 \offset2
.endm

.macro _ds_store2_b32 dst src offset1 offset2
    ds_write2_b32 \dst \src \offset1 \offset2
.endm

.macro _ds_store2_b64 dst src offset1 offset2
    ds_write2_b64 \dst \src \offset1 \offset2
.endm


/* buffer memory operation macros */
.macro _buffer_load_b32 dst voffset base soffset offen ioffset md0 md1 md2
    buffer_load_dword \dst \voffset \base \soffset \offen \ioffset \md0 \md1 \md2
.endm

.macro _buffer_load_b64 dst voffset base soffset offen ioffset md0 md1 md2
    buffer_load_dwordx2 \dst \voffset \base \soffset \offen \ioffset \md0 \md1 \md2
.endm

.macro _buffer_load_b96 dst voffset base soffset offen ioffset md0 md1 md2
    buffer_load_dwordx3 \dst \voffset \base \soffset \offen \ioffset \md0 \md1 \md2
.endm

.macro _buffer_load_b128 dst voffset base soffset offen ioffset md0 md1 md2
    buffer_load_dwordx4 \dst \voffset \base \soffset \offen \ioffset \md0 \md1 \md2
.endm

.macro _buffer_load_d16_b16 dst voffset base soffset offen ioffset md0 md1 md2
    buffer_load_short_d16 \dst \voffset \base \soffset \offen \ioffset \md0 \md1 \md2
.endm

.macro _buffer_load_d16_hi_b16 dst voffset base soffset offen ioffset md0 md1 md2
    buffer_load_short_d16_hi \dst \voffset \base \soffset \offen \ioffset \md0 \md1 \md2
.endm

.macro _buffer_load_d16_u8 dst voffset base soffset offen ioffset md0 md1 md2
    buffer_load_ubyte_d16 \dst \voffset \base \soffset \offen \ioffset \md0 \md1 \md2
.endm

.macro _buffer_load_d16_hi_u8 dst voffset base soffset offen ioffset md0 md1 md2
    buffer_load_ubyte_d16_hi \dst \voffset \base \soffset \offen \ioffset \md0 \md1 \md2
.endm

.macro _buffer_load_u16 dst voffset base soffset offen ioffset md0 md1 md2
    buffer_load_ushort \dst \voffset \base \soffset \offen \ioffset \md0 \md1 \md2
.endm

.macro _buffer_load_b32_dtl voffset base soffset offen ioffset md0 md1 md2
    buffer_load_dword \voffset \base \soffset \offen \ioffset \md0 \md1 \md2
.endm

.macro _buffer_load_b64_dtl voffset base soffset offen ioffset md0 md1 md2
    buffer_load_dwordx2 \voffset \base \soffset \offen \ioffset \md0 \md1 \md2
.endm

.macro _buffer_load_b128_dtl voffset base soffset offen ioffset md0 md1 md2
    buffer_load_dwordx4 \voffset \base \soffset \offen \ioffset \md0 \md1 \md2
.endm

.macro _buffer_load_u16_dtl voffset base soffset offen ioffset md0 md1 md2
    buffer_load_ushort \voffset \base \soffset \offen \ioffset \md0 \md1 \md2
.endm

.macro _buffer_store_b32 src voffset base soffset offen ioffset md0 md1 md2
    buffer_store_dword \src \voffset \base \soffset \offen \ioffset \md0 \md1 \md2
.endm

.macro _buffer_store_b64 src voffset base soffset offen ioffset md0 md1 md2
    buffer_store_dwordx2 \src \voffset \base \soffset \offen \ioffset \md0 \md1 \md2
.endm

.macro _buffer_store_b96 src voffset base soffset offen ioffset md0 md1 md2
    buffer_store_dwordx3 \src \voffset \base \soffset \offen \ioffset \md0 \md1 \md2
.endm

.macro _buffer_store_b128 src voffset base soffset offen ioffset md0 md1 md2
    buffer_store_dwordx4 \src \voffset \base \soffset \offen \ioffset \md0 \md1 \md2
.endm

.macro _buffer_store_b16 src voffset base soffset offen ioffset md0 md1 md2
    buffer_store_short \src \voffset \base \soffset \offen \ioffset \md0 \md1 \md2
.endm

.macro _buffer_store_d16_hi_b16 src voffset base soffset offen ioffset md0 md1 md2
    buffer_store_short_d16_hi \src \voffset \base \soffset \offen \ioffset \md0 \md1 \md2
.endm

.macro _buffer_store_b8 src voffset base soffset offen ioffset md0 md1 md2
    buffer_store_byte \src \voffset \base \soffset \offen \ioffset \md0 \md1 \md2
.endm

.macro _buffer_store_d16_hi_b8 src voffset base soffset offen ioffset md0 md1 md2
    buffer_store_byte_d16_hi \src \voffset \base \soffset \offen \ioffset \md0 \md1 \md2
.endm

.macro _buffer_atomic_cmpswap_b32 dst voffset base soffset offen ioffset md0 md1 md2
    buffer_atomic_cmpswap \dst \voffset \base \soffset \offen \ioffset \md0 \md1 \md2
.endm

.macro _buffer_atomic_cmpswap_b64 dst voffset base soffset offen ioffset md0 md1 md2
    buffer_atomic_cmpswap_x2 \dst \voffset \base \soffset \offen \ioffset \md0 \md1 \md2
.endm


/* buffer memory operation macros */
.macro _global_load_b32 dst base src ioffset md0 md1 md2
    global_load_dword \dst \base \src \ioffset \md0 \md1 \md2
.endm

.macro _global_load_b64 dst base src ioffset md0 md1 md2
    global_load_dwordx2 \dst \base \src \ioffset \md0 \md1 \md2
.endm

.macro _global_load_b96 dst base src ioffset md0 md1 md2
    global_load_dwordx3 \dst \base \src \ioffset \md0 \md1 \md2
.endm

.macro _global_load_b128 dst base src ioffset md0 md1 md2
    global_load_dwordx4 \dst \base \src \ioffset \md0 \md1 \md2
.endm

.macro _global_load_d16_b16 dst base src ioffset md0 md1 md2
    global_load_short_d16 \dst \base \src \ioffset \md0 \md1 \md2
.endm

.macro _global_load_d16_hi_b16 dst base src ioffset md0 md1 md2
    global_load_short_d16_hi \dst \base \src \ioffset \md0 \md1 \md2
.endm

.macro _global_load_d16_u8 dst base src ioffset md0 md1 md2
    global_load_ubyte_d16 \dst \base \src \ioffset \md0 \md1 \md2
.endm

.macro _global_load_d16_hi_u8 dst base src ioffset md0 md1 md2
    global_load_ubyte_d16_hi \dst \base \src \ioffset \md0 \md1 \md2
.endm

.macro _global_load_u16 dst base src ioffset md0 md1 md2
    global_load_ushort \dst \base \src \ioffset \md0 \md1 \md2
.endm

.macro _global_store_b32 base src src2 md0 md1 md2
    global_store_dword \base \src \src2 \md0 \md1 \md2
.endm

.macro _global_store_b64 base src src2 md0 md1 md2
    global_store_dwordx2 \base \src \src2 \md0 \md1 \md2
.endm

.macro _global_store_b96 base src src2 md0 md1 md2
    global_store_dwordx3 \base \src \src2 \md0 \md1 \md2
.endm

.macro _global_store_b128 base src src2 md0 md1 md2
    global_store_dwordx4 \base \src \src2 \md0 \md1 \md2
.endm

.macro _global_store_d16_b16 base src src2 md0 md1 md2
    global_store_short \base \src \src2 \md0 \md1 \md2
.endm

.macro _global_store_d16_hi_b16 base src src2 md0 md1 md2
    global_store_short_d16_hi \base \src \src2 \md0 \md1 \md2
.endm

.macro _global_store_d16_u8 base src src2 md0 md1 md2
    global_store_ubyte_d16 \base \src \src2 \md0 \md1 \md2
.endm

.macro _global_store_d16_hi_u8 base src src2 md0 md1 md2
    global_store_ubyte_d16_hi \base \src \src2 \md0 \md1 \md2
.endm

.macro _global_store_u16 base src src2 md0 md1 md2
    global_store_ushort \base \src \src2 \md0 \md1 \md2
.endm

.macro _global_atomic_cmpswap_b32 tmp base data src ioffset md
    global_atomic_cmpswap \tmp \base \data \src \ioffset \md
.endm

.macro _global_atomic_cmpswap_b64 tmp base data src ioffset md
    global_atomic_cmpswap_x2 \tmp \base \data \src \ioffset \md
.endm


/******************************************/
/* Magic div and mod functions            */
/******************************************/
.macro V_MAGIC_DIV dstIdx:req, dividend:req, magicNumber:req, magicShift:req, magicA:req
    v_mul_hi_u32 v[\dstIdx+1], \dividend, \magicNumber
    v_mul_lo_u32 v[\dstIdx+0], \dividend, \magicA
    _v_add_u32 v[\dstIdx+0], v[\dstIdx+0], v[\dstIdx+1]
    v_lshrrev_b32 v[\dstIdx+0], \magicShift, v[\dstIdx+0]
.endm

/******************************************/
/* VGPR Assignments                       */
/******************************************/
/* ValuC range: [0-16), serializedStore enabled */
.set vgprValuC, 0
/* ValuA/B   Xn=PLR buffer idx,  In=InnerUnroll idx */
.set vgprValuA_X0_I0, 16
.set vgprValuA_X1_I0, 18
.set vgprG2LA, 28
.set vgprValuB_X0_I0, 20
.set vgprValuB_X1_I0, 22
.set vgprG2LB, 30
.set vgprLocalWriteAddrA, 24
.set vgprLocalWriteAddrB, 25
.set vgprGlobalReadOffsetA, 26
.set vgprGlobalReadOffsetB, 27
.set vgprLocalReadAddrA, 32
.set vgprLocalReadAddrB, 33
.set vgprG2Lpipe0, 34
.set vgprG2Lpipe1, 35
.set vgprSerial, 36
/* Num VGPR=64 */
/* Num AccVGPR=0 */

/******************************************/
/* SGPR Assignments                       */
/******************************************/
.set sgprKernArgAddress, 0 // (2)
.set sgprWorkGroup0, 2 // (1)
.set sgprWorkGroup1, 3 // (1)
.set sgprWorkGroup2, 4 // (1)
.set sgprLoopCounterL, 5 // (1)
.set sgprOrigLoopCounter, 6 // (1)
.set sgprSrdA, 8 // (4)
.set sgprSrdB, 12 // (4)
.set sgprSrdD, 16 // (4)
.set sgprSrdC, 20 // (4)
.set sgprTensor2dSizeA, 24 // (2)
.set sgprTensor2dSizeB, 26 // (2)
.set sgprAddressD, 28 // (2)
.set sgprAddressC, 30 // (2)
.set sgprAddressA, 32 // (2)
.set sgprAddressB, 34 // (2)
.set sgprAlpha, 36 // (1)
.set sgprBeta, 37 // (1)
.set sgprStridesD, 38 // (2)
.set sgprStridesC, 40 // (2)
.set sgprStridesA, 42 // (2)
.set sgprStridesB, 44 // (2)
.set sgprSizesFree, 46 // (3)
.set sgprSizesSum, 49 // (1)
.set sgprNumWorkGroups0, 50 // (1)
.set sgprNumWorkGroups1, 51 // (1)
.set sgprNumFullBlocks, 52 // (1)
.set sgprWgmRemainder1, 53 // (1)
.set sgprMagicNumberWgmRemainder1, 54 // (1)
.set sgprShadowLimitA, 0 // (2)
.set sgprShadowLimitB, 28 // (2)
.set sgprGlobalReadIncsA, 7 // (1)
.set sgprGlobalReadIncsB, 30 // (1)
/* max SGPR=58 */

/* Size Assignments */
.set sgprSizeI, sgprSizesFree+0
.set sgprSizeJ, sgprSizesFree+1
.set sgprSizeK, sgprSizesFree+2
.set sgprSizeL, sgprSizesSum+0

/* Stride Assignments */
.set constStrideD0I, 1
.set sgprStrideD1J, sgprStridesD+0
.set sgprStrideDK, sgprStridesD+1
.set constStrideC0I, 1
.set sgprStrideC1J, sgprStridesC+0
.set sgprStrideCK, sgprStridesC+1
.set constStrideA0I, 1
.set sgprStrideAL, sgprStridesA+0
.set sgprStrideAK, sgprStridesA+1
.set constStrideB1J, 1
.set sgprStrideBL, sgprStridesB+0
.set sgprStrideBK, sgprStridesB+1

.set MT0, 64
.set MT1, 64
.set DepthU, 16
.set GSU, 1
.set BpeA, 2
.set BpeALog2, 1
.set BpeB, 2
.set BpeBLog2, 1
/* Number of elements to shift-left SRD */
.set SrdShiftLeftA, 4
.set SrdShiftLeftB, 4
/* 2GB limit - set offsets to -1 to exceed this and clamp */
.set BufferLimitA, 0xffffffff
.set BufferLimitB, 0xffffffff
.set BufferOOB, 0xfffff000

/******************************************/
/* Bits 127:96 of SRD.                    */
/* hex: 0x00020000                        */
/* dst_sel_x (3b): 0                      */
/* dst_sel_y (3b): 0                      */
/* dst_sel_z (3b): 0                      */
/* dst_sel_w (3b): 0                      */
/* num_format (3b): 0                     */
/* data_format (4b): 4                    */
/* user_vm_enable (1b): 0                 */
/* user_vm_mode (1b): 0                   */
/* index_stride (2b): 0                   */
/* add_tid_enable (1b): 0                 */
/* _unusedA (3b): 0                       */
/* nv (1b): 0                             */
/* _unusedB (2b): 0                       */
/* type (2b): 0                           */
/******************************************/
.set Srd127_96, 0x00020000

/* Global Offset A */
.macro GLOBAL_OFFSET_A vgprAddr:req vgprOffset0I:req vgprOffsetL:req vgprTmp:req
v_mul_lo_u32 v[\vgprTmp+0], s[sgprStrideAL], v[\vgprOffsetL] // mul d1 lower
_v_add_co_u32 v[\vgprAddr+0], vcc, v[\vgprOffset0I], v[\vgprTmp+0] // accumulate K lower
_v_add_u32 v[\vgprAddr+0], 0x4, v[\vgprAddr+0]     // add prepad for pointer shift
v_lshlrev_b32 v[\vgprAddr+0], 0x1, v[\vgprAddr+0]  // offset *= bytes/element
.endm

/* Global Offset B */
.macro GLOBAL_OFFSET_B vgprAddr:req vgprOffset1J:req vgprOffsetL:req vgprTmp:req
v_mul_lo_u32 v[\vgprTmp+0], s[sgprStrideBL], v[\vgprOffsetL] // mul d1 lower
_v_add_co_u32 v[\vgprAddr+0], vcc, v[\vgprOffset1J], v[\vgprTmp+0] // accumulate K lower
_v_add_u32 v[\vgprAddr+0], 0x4, v[\vgprAddr+0]     // add prepad for pointer shift
v_lshlrev_b32 v[\vgprAddr+0], 0x1, v[\vgprAddr+0]  // offset *= bytes/element
.endm

/******************************************/
/* Dynamic Scalar Divide: vQuotient=vDividend/vDivisor; vRemainder=vDividend%vDivisor; */
/******************************************/
.macro DYNAMIC_VECTOR_DIVIDE vQuotient vRemainder vDividend vDivisor vTmp0 vTmp1 sTmp
v_cvt_f32_u32 v[\vQuotient], v[\vDivisor]          // 
v_rcp_f32 v[\vQuotient], v[\vQuotient]             // 
v_mul_f32 v[\vQuotient], 0x4f800000, v[\vQuotient] // 
v_cvt_u32_f32 v[\vQuotient], v[\vQuotient]         // 
v_mul_lo_u32 v[\vRemainder], v[\vDivisor], v[\vQuotient] // 
v_mul_hi_u32 v[\vTmp0], v[\vDivisor], v[\vQuotient] // 
_v_sub_co_u32 v[\vTmp1], vcc, 0x0, v[\vRemainder]  // 
v_cmp_ne_i32 s[\sTmp:\sTmp+1], 0x0, v[\vTmp0]      // 
v_cndmask_b32 v[\vRemainder], v[\vTmp1], v[\vRemainder], s[\sTmp:\sTmp+1] // 
v_mul_hi_u32 v[\vRemainder], v[\vRemainder], v[\vQuotient] // 
_v_sub_co_u32 v[\vTmp0], vcc, v[\vQuotient], v[\vRemainder] // 
_v_add_co_u32 v[\vQuotient], vcc, v[\vQuotient], v[\vRemainder] // 
v_cndmask_b32 v[\vQuotient], v[\vQuotient], v[\vTmp0], s[\sTmp:\sTmp+1] // 
v_mul_hi_u32 v[\vQuotient], v[\vQuotient], v[\vDividend] // 
v_mul_lo_u32 v[\vRemainder], v[\vQuotient], v[\vDivisor] // 
_v_sub_co_u32 v[\vTmp0], vcc, v[\vDividend], v[\vRemainder] // 
v_cmp_ge_u32 s[\sTmp:\sTmp+1], v[\vDividend], v[\vRemainder] // 
_v_add_co_u32 v[\vRemainder], vcc, 0x1, v[\vQuotient] // 
_v_add_co_u32 v[\vTmp1], vcc, -1, v[\vQuotient]    // 
v_cmp_le_u32 vcc, v[\vDivisor], v[\vTmp0]          // 
s_and_b64 vcc, s[\sTmp:\sTmp+1], vcc               // 
v_cndmask_b32 v[\vQuotient], v[\vQuotient], v[\vRemainder], vcc // 
v_cndmask_b32 v[\vQuotient], v[\vTmp1], v[\vQuotient], s[\sTmp:\sTmp+1] // 
v_cmp_ne_i32 vcc, 0x0, v[\vDivisor]                // 
v_cndmask_b32 v[\vQuotient], -1, v[\vQuotient], vcc // final result
v_mul_lo_u32 v[\vRemainder], v[\vQuotient], v[\vDivisor] // 
_v_sub_co_u32 v[\vRemainder], vcc, v[\vDividend], v[\vRemainder] // final result
.endm



/******************************************/
/* Allocate Resources                     */
/******************************************/

Cijk_Ailk_Bjlk_HHS_BHR_MT64x64x16_MI32x32x8x1_SN_1LDSB0_AF0EM1_AF1EM1_AMAS0_ASE_ASLT_ASEM1_BL1_EPS0_GLVWA4_GLVWB4_GRVW8_GSU1_GSUASB_ISA90a_IU1_K1_KLA_LBSPPB0_LPA0_LPB0_LDL1_LRVW4_LDW0_FMA_MIAV1_MMFGLC_NTC0_NTD0_NEPBS16_NLCA1_NLCB1_PGR2_PLR2_SIA3_SS1_SU0_SUM0_SUS0_SPO0_SRVW0_SSO0_SVW1_TT1_32_TLDS0_UMLDSB0_USFGROn1_VAW1_VSn1_VW1_VWB1_WSGRA1_WSGRB1_WG64_4_1_WGM2_preloaded: // Kernel start when preloading

/* Load Kernel Args */
_s_load_b512 s[24:39], s[sgprKernArgAddress:sgprKernArgAddress+1], 0x0 // 
_s_load_b256 s[40:47], s[sgprKernArgAddress:sgprKernArgAddress+1], 0x40 // 
_s_load_b128 s[48:51], s[sgprKernArgAddress:sgprKernArgAddress+1], 0x60 // 
_s_load_b64 s[52:53], s[sgprKernArgAddress:sgprKernArgAddress+1], 0x70 // 
_s_load_b32 s54, s[sgprKernArgAddress:sgprKernArgAddress+1], 0x78 // 
s_mov_b32 m0, 0x2000                               // LDS clamp at 8192 bytes
v_mov_b32 v[vgprSerial], v0                        // thread serial id

/******************************************/
/* Local Read Addresses                   */
/******************************************/


/* local read addresses: tile assignments a/b */

/*lr0I*/
v_and_b32 v1, 63, v[vgprSerial]                    // 0. thread id in wave: wtid = tid % wavelength(64)
v_and_b32 v0, 31, v1                               // 1. N offset: nIdx = wtid % MI_N(32)
                                                   // 1. N offset: nOffset = nIdx * nStride(1) (multiplier is 1, do nothing)
                                                   // 2. block offset: bnIdx = bnIdx % num1DBlocks(1) is 0. do nothing
                                                   // 4. apply VectorWidth: bnOffset = bnOffset * vw(1) (multiplier is 1, do nothing)
v_lshrrev_b32 v1, 5, v1                            // 5. K offset: kIdx = wtid / (MIN(32) * MIBB(1))
v_lshlrev_b32 v1, 0x8, v1                          // 5. K offset: lrKOffset = kIdx * mStride(256)
_v_add_u32 v0, v1, v0                              // 6. offset in wave: lrOffset = bnOffset + lrKOffset
v_lshrrev_b32 v2, 6, v[vgprSerial]                 // 7. wave offset in N dimen: wtid = tid / dividedForWaveId(64)
v_and_b32 v1, 1, v2                                // 7. wave offset in M dimen: wtid0 = wtid / num1DWaves(2)
v_lshlrev_b32 v1, 0x5, v1                          // 7. wave offset in M dimen: wOffset = wtid0 * W0Stride(32)
_v_add_u32 v0, v1, v0                              // 8. final local read offset: flrOffset = lrOffset + WOffset
/*lr1J*/
v_and_b32 v2, 63, v[vgprSerial]                    // 0. thread id in wave: wtid = tid % wavelength(64)
v_and_b32 v1, 31, v2                               // 1. N offset: nIdx = wtid % MI_N(32)
                                                   // 1. N offset: nOffset = nIdx * nStride(1) (multiplier is 1, do nothing)
                                                   // 2. block offset: bnIdx = bnIdx % num1DBlocks(1) is 0. do nothing
                                                   // 4. apply VectorWidth: bnOffset = bnOffset * vw(1) (multiplier is 1, do nothing)
v_lshrrev_b32 v2, 5, v2                            // 5. K offset: kIdx = wtid / (MIN(32) * MIBB(1))
v_lshlrev_b32 v2, 0x8, v2                          // 5. K offset: lrKOffset = kIdx * mStride(256)
_v_add_u32 v1, v2, v1                              // 6. offset in wave: lrOffset = bnOffset + lrKOffset
v_lshrrev_b32 v3, 7, v[vgprSerial]                 // 7. wave offset in N dimen: wtid = tid / dividedForWaveId(128)
v_and_b32 v2, 1, v3                                // 7. wave offset in M dimen: wtid0 = wtid / num1DWaves(2)
v_lshlrev_b32 v2, 0x5, v2                          // 7. wave offset in M dimen: wOffset = wtid0 * W0Stride(32)
_v_add_u32 v1, v2, v1                              // 8. final local read offset: flrOffset = lrOffset + WOffset


/* local read addresses: final offsets a */

v_lshlrev_b32 v[vgprLocalReadAddrA], 0x1, v0       // Final Offset: offset = (lro0)*bpe


/* local read addresses: final offsets b */

v_lshlrev_b32 v[vgprLocalReadAddrB], 0x1, v1       // Final Offset: offset = (lro1)*bpe


/* local read addresses: declare addresses a */

/* N/A */


/* local read addresses: declare addresses b */

_v_add_co_u32 v[vgprLocalReadAddrB+0], vcc, 0x800, v[vgprLocalReadAddrB+0] //  += LdsOffsetB (lower)


/* global read addresses: tile offset assignment a */

/* LVCA = 16 */
/* v0 = (local)groA-tile = serial%LVCA (note (wgA*MTA) will be added to SRD) */
/* v1 = groA-unroll = serial/LVCA */
v_and_b32 v2, 63, v[vgprSerial]                    // v2 = v[vgprSerial] % 64
v_lshrrev_b32 v1, 4, v2                            // v1 = v2 / 16
v_and_b32 v0, 15, v2                               // v0 = v2 % 16
v_readfirstlane_b32 s56, v[vgprSerial]             // WaveIdxWavefrontWidth
s_lshr_b32 s56, s56, 0x6                           // WaveId
s_mul_i32 s56, s56, 4                              // Global Read Wave: each wave loads continuous lsp(4)*nrp(1) columns
_v_add_u32 v1, s56, v1                             // Global Read Wave: add back to column index
/* gro-tile *= glvw */
v_lshlrev_b32 v0, 0x2, v0                          // v0 = v0 * 4


/* global read addresses: tile offset assignment b */

/* LVCB = 16 */
/* v2 = (local)groB-tile = serial%LVCB (note (wgB*MTB) will be added to SRD) */
/* v3 = groB-unroll = serial/LVCB */
v_and_b32 v4, 63, v[vgprSerial]                    // v4 = v[vgprSerial] % 64
v_lshrrev_b32 v3, 4, v4                            // v3 = v4 / 16
v_and_b32 v2, 15, v4                               // v2 = v4 % 16
v_readfirstlane_b32 s56, v[vgprSerial]             // WaveIdxWavefrontWidth
s_lshr_b32 s56, s56, 0x6                           // WaveId
s_mul_i32 s56, s56, 4                              // Global Read Wave: each wave loads continuous lsp(4)*nrp(1) columns
_v_add_u32 v3, s56, v3                             // Global Read Wave: add back to column index
/* gro-tile *= glvw */
v_lshlrev_b32 v2, 0x2, v2                          // v2 = v2 * 4


/******************************************/
/* Local Write Addresses                  */
/******************************************/

/* lwaTileAssignmentA = v0 */

/* lwaTileAssignmentB = v2 */

/* lwaUnrollAssignmentA = v1 */

/* lwaUnrollAssignmentB = v3 */


/* local write addresses: first offset a */

v_mul_u32_u24 v[vgprLocalWriteAddrA], 0x40, v1     // lwAL**(MTA + PAD)
_v_add_lshl_u32 v[vgprLocalWriteAddrA], v0, v[vgprLocalWriteAddrA], 0x1 // lwFOA = (lwAA + lwAL*(MT0I+PAD))*bpe


/* local write addresses: first offset b */

v_mul_u32_u24 v[vgprLocalWriteAddrB], 0x40, v3     // lwBL**(MTB + PAD)
_v_add_lshl_u32 v[vgprLocalWriteAddrB], v2, v[vgprLocalWriteAddrB], 0x1 // lwFOB = (lwBB + lwBL*(MT1J+PAD))*bpe
_v_add_co_u32 v[vgprLocalWriteAddrB], vcc, 0x800, v[vgprLocalWriteAddrB] // lwFOB = lwB1J + lwBL*MT1J + LDS_OFFSET_B=1024*2


	;; [unrolled: 1-line block ×7, first 2 shown]
s_waitcnt lgkmcnt(0)                               // wait for 124 bytes of kern args
s_mov_b64 s[sgprSrdC+0:sgprSrdC+0+1], s[sgprAddressC+0:sgprAddressC+0+1] // copy addressC
s_mov_b64 s[sgprSrdD+0:sgprSrdD+0+1], s[sgprAddressD+0:sgprAddressD+0+1] // copy addressD
s_sub_u32 s[sgprSrdA+0], s[sgprAddressA+0], 8      // pre-pad to make room for possible pointer shift
s_subb_u32 s[sgprSrdA+1], s[sgprAddressA+1], 0     // pre-pad to make room for possible pointer shift
s_sub_u32 s[sgprSrdB+0], s[sgprAddressB+0], 8      // pre-pad to make room for possible pointer shift
s_subb_u32 s[sgprSrdB+1], s[sgprAddressB+1], 0     // pre-pad to make room for possible pointer shift

.set AddressD, UNDEF
.set AddressC, UNDEF
.set AddressA, UNDEF
.set AddressB, UNDEF

/* Short circuit condition if Alpha == 0, then sumDims=0 */
v_cmp_eq_f32 vcc, s[sgprAlpha], 0.0                // Alpha == 0.0f ?
s_cbranch_vccz label_AlphaNonZero                  // branch if alpha != 0
s_mov_b32 s[sgprSizesSum+0], 0x0                   // Set summation dim=0 if Alpha == 0
label_AlphaNonZero:



/******************************************/
/* Begin setupNewTile, isPap=False           */
/******************************************/


/* global read addresses: work-group */

/* graWorkGroup mapping */
s_mov_b32 s35, 0x40000001L                         // magic number for WGM==2
s_mul_hi_u32 s33, s[sgprWorkGroup1], s35           // s_magic mul
s_mul_i32 s32, s[sgprWorkGroup1], s35              // s_magic mul
s_lshr_b64 s[32:33], s[32:33], 31                  // sMagicDiv
s_mul_i32 s33, s32, 2                              // quotient * non-magic divisor
s_sub_u32 s33, s[sgprWorkGroup1], s33              // WorkGroup1=remainder
s_mul_i32 s33, s33, s[sgprNumWorkGroups0]          // (wg1 % WGM)*nwg0
s_add_u32 s33, s33, s[sgprWorkGroup0]              // wgSerial = wg0 + (wg1 % WGM)*nwg1
s_cmp_ge_u32 s32, s[sgprNumFullBlocks]             // blockId >= numFullBlocks ?
s_cmov_b32 s35, s[sgprMagicNumberWgmRemainder1]    // 
s_cselect_b32 s34, s[sgprWgmRemainder1], 2         // 
s_mul_hi_u32 s3, s33, s35                          // s_magic mul
s_mul_i32 s2, s33, s35                             // s_magic mul
s_lshr_b64 s[2:3], s[2:3], 31                      // sMagicDiv
s_mul_i32 s[sgprWorkGroup1], s[sgprWorkGroup0], s34 // quotient * non-magic divisor
s_sub_u32 s[sgprWorkGroup1], s33, s[sgprWorkGroup1] // WorkGroup1=remainder
s_mul_i32 s32, s32, 2                              // blockId * WGM
s_add_u32 s[sgprWorkGroup1], s[sgprWorkGroup1], s32 // wg1 += blockId * WGM


/* global read addresses: unroll assignment a */

/* v1 */


/* global read addresses: unroll assignment b */

/* v3 */


/* global read addresses: other free assignments */

/* s[sgprWorkGroup2] */


/* global read addresses: tile offsets a */

v_mov_b32 v4, v0                                   // groA0I_0


/* global read addresses: tile offsets b */

v_mov_b32 v5, v2                                   // groB1J_0


/* global read addresses: unroll offsets a */

v_mov_b32 v6, v1                                   // groAL_0


/* global read addresses: unroll offsets b */

v_mov_b32 v7, v3                                   // groBL_0


/* global read addresses: shift a */

s_mul_i32 s31, s[sgprWorkGroup0], 64               // WorkGroup[01] * MT
s_sub_u32 s31, s[sgprSizeI], s31                   // edge = Size0I - WG*MT
s_sub_u32 s31, s31, 4                              // edge -= margin(4)
v_mov_b32 v8, s31                                  // edge vgpr = Size0I- WG*MT - margin(4)
v_min_i32 v4, v8, v4                               // offset = (offset < edge) ? offset(v4) : edge(v8)


/* global read addresses: shift b */

s_mul_i32 s31, s[sgprWorkGroup1], 64               // WorkGroup[01] * MT
s_sub_u32 s31, s[sgprSizeJ], s31                   // edge = Size1J - WG*MT
s_sub_u32 s31, s31, 4                              // edge -= margin(4)
v_mov_b32 v8, s31                                  // edge vgpr = Size1J- WG*MT - margin(4)
v_min_i32 v5, v8, v5                               // offset = (offset < edge) ? offset(v5) : edge(v8)


/* global read addresses: final offsets a */

GLOBAL_OFFSET_A vgprGlobalReadOffsetA+0,  4,  6, 8 // gROA_0_0_0_0


/* global read addresses: final offsets b */

GLOBAL_OFFSET_B vgprGlobalReadOffsetB+0,  5,  7, 8 // gROB_0_0_0_0


/* global read addresses: addresses a */

/* max read offset = size[n] * stride[n-1] */
s_mul_hi_u32 s35, s[sgprWorkGroup0], 64            // WorkGroup[01] * MT
s_mul_i32 s34, s[sgprWorkGroup0], 64               // WorkGroup[01] * MT
s_sub_u32 s[sgprShadowLimitA+0], s[sgprTensor2dSizeA], s34 // sub tileStart
s_subb_u32 s[sgprShadowLimitA+1], s[sgprTensor2dSizeA+1], s35 // sub tileStart
s_lshl_b64 s[sgprShadowLimitA:sgprShadowLimitA+1], s[sgprShadowLimitA:sgprShadowLimitA+1], 0x1 // Set limit to use bytes
s_add_u32 s[sgprShadowLimitA+0], s[sgprShadowLimitA+0], 8 // extend limit for pre-pad
s_addc_u32 s[sgprShadowLimitA+1], s[sgprShadowLimitA+1], 0 // extend limit for pre-pad
s_cmp_eq_u32 s[sgprShadowLimitA+1], 0              // are we within 2^32?
s_cselect_b32 s[sgprSrdA+2], s[sgprShadowLimitA+0], BufferLimitA // Move shadow to real if we are within 2^32
s_mul_hi_u32 s33, s[sgprStrideAK], s[sgprWorkGroup2] // Stride*WG
s_mul_i32 s32, s[sgprStrideAK], s[sgprWorkGroup2]  // Stride*WG
s_add_u32 s34, s34, s32                            // accum wg term to tilestart
s_addc_u32 s35, s35, s33                           // accum wg term to tilestart
s_lshl_b64 s[34:35], s[34:35], 0x1                 // tileStart *= BPE
s_add_u32 s[sgprSrdA+0], s[sgprSrdA+0], s34        // SRD base = Address+ tileStart0
s_addc_u32 s[sgprSrdA+1], s[sgprSrdA+1], s35       // SRD base = Address+ tileStart1
s_mov_b32 s[sgprSrdA+3], Srd127_96                 // Set bits 127_96 in SRD


/* global read addresses: addresses b */

/* max read offset = size[n] * stride[n-1] */
s_mul_hi_u32 s35, s[sgprWorkGroup1], 64            // WorkGroup[01] * MT
s_mul_i32 s34, s[sgprWorkGroup1], 64               // WorkGroup[01] * MT
s_sub_u32 s[sgprShadowLimitB+0], s[sgprTensor2dSizeB], s34 // sub tileStart
s_subb_u32 s[sgprShadowLimitB+1], s[sgprTensor2dSizeB+1], s35 // sub tileStart
s_lshl_b64 s[sgprShadowLimitB:sgprShadowLimitB+1], s[sgprShadowLimitB:sgprShadowLimitB+1], 0x1 // Set limit to use bytes
s_add_u32 s[sgprShadowLimitB+0], s[sgprShadowLimitB+0], 8 // extend limit for pre-pad
s_addc_u32 s[sgprShadowLimitB+1], s[sgprShadowLimitB+1], 0 // extend limit for pre-pad
s_cmp_eq_u32 s[sgprShadowLimitB+1], 0              // are we within 2^32?
s_cselect_b32 s[sgprSrdB+2], s[sgprShadowLimitB+0], BufferLimitB // Move shadow to real if we are within 2^32
s_mul_hi_u32 s33, s[sgprStrideBK], s[sgprWorkGroup2] // Stride*WG
s_mul_i32 s32, s[sgprStrideBK], s[sgprWorkGroup2]  // Stride*WG
s_add_u32 s34, s34, s32                            // accum wg term to tilestart
s_addc_u32 s35, s35, s33                           // accum wg term to tilestart
s_lshl_b64 s[34:35], s[34:35], 0x1                 // tileStart *= BPE
s_add_u32 s[sgprSrdB+0], s[sgprSrdB+0], s34        // SRD base = Address+ tileStart0
s_addc_u32 s[sgprSrdB+1], s[sgprSrdB+1], s35       // SRD base = Address+ tileStart1
s_mov_b32 s[sgprSrdB+3], Srd127_96                 // Set bits 127_96 in SRD


/* global read addresses: increments a */

s_mul_i32 s[sgprGlobalReadIncsA+0], DepthU*BpeA, s[sgprStrideAL] // incrA unrollIdx)


/* global read addresses: increments b */

s_mul_i32 s[sgprGlobalReadIncsB+0], DepthU*BpeB, s[sgprStrideBL] // incrB unrollIdx)

/* declare loop num iterations */


s_lshr_b32 s[sgprLoopCounterL], s[sgprSizesSum+0], 4 // s[sgprLoopCounterL] = s[sgprSizesSum+0] / 16
s_mov_b32 s[sgprOrigLoopCounter], s[sgprLoopCounterL] // copy loop counter

/* local read addresses: init pointers a */


/* localReadInitPointers */

/* local read addresses: init pointers b */


/* localReadInitPointers */


/* prefetch: global -> local */

s_cmp_eq_u32 s[sgprLoopCounterL], 0                // at last iteration?
s_cbranch_scc1 ShadowInitStart_10                  // skip to ShadowInitStart iter b/c numIter==0


_buffer_load_b64 v[vgprG2LA+0:vgprG2LA+0+1], v[vgprGlobalReadOffsetA+0], s[sgprSrdA:sgprSrdA+3], 0, offen offset:0 // G -> Reg 0_0_0_0


_buffer_load_b64 v[vgprG2LB+0:vgprG2LB+0+1], v[vgprGlobalReadOffsetB+0], s[sgprSrdB:sgprSrdB+3], 0, offen offset:0 // G -> Reg 0_0_0_0


/* global read inc A loopL */
s_add_u32 s[sgprSrdA+0], s[sgprSrdA+0], s[sgprGlobalReadIncsA+0] // gra SRD += inc(lower)
s_addc_u32  s[sgprSrdA+1], s[sgprSrdA+1], 0        // gra SRD += inc(upper)
s_sub_u32 s[sgprShadowLimitA+0], s[sgprShadowLimitA+0], s[sgprGlobalReadIncsA+0] // limit -= inc)
s_subb_u32 s[sgprShadowLimitA+1], s[sgprShadowLimitA+1], 0 // limit -= inc)
s_cmp_eq_u32 s[sgprShadowLimitA+1], 0              // are we within 2^32?
s_cmov_b32 s[sgprSrdA+2], s[sgprShadowLimitA+0]    // Move shadow to real if we are within 2^32

/* global read inc B loopL */
s_add_u32 s[sgprSrdB+0], s[sgprSrdB+0], s[sgprGlobalReadIncsB+0] // gra SRD += inc(lower)
s_addc_u32  s[sgprSrdB+1], s[sgprSrdB+1], 0        // gra SRD += inc(upper)
s_sub_u32 s[sgprShadowLimitB+0], s[sgprShadowLimitB+0], s[sgprGlobalReadIncsB+0] // limit -= inc)
s_subb_u32 s[sgprShadowLimitB+1], s[sgprShadowLimitB+1], 0 // limit -= inc)
s_cmp_eq_u32 s[sgprShadowLimitB+1], 0              // are we within 2^32?
s_cmov_b32 s[sgprSrdB+2], s[sgprShadowLimitB+0]    // Move shadow to real if we are within 2^32


/******************************************/
/* End setupNewTile, isPap=False             */
/******************************************/

ShadowInitStart_10: // 

s_mov_b32 s[sgprSrdD+2], BufferOOB                 // 
s_mov_b32 s[sgprSrdD+3], Srd127_96                 // Set bits 127_96 in post-loop SRD

s_mov_b32 s[sgprSrdC+2], BufferOOB                 // 
s_mov_b32 s[sgprSrdC+3], Srd127_96                 // Set bits 127_96 in post-loop SRD


s_mul_i32 s34, MT1, s[sgprWorkGroup1]              // <- wg1*MT1
s_mul_hi_u32 s33, s34, s[sgprStrideC1J]            // CScale s34 by Stride
s_mul_i32 s32, s34, s[sgprStrideC1J]               // CScale s34 by Stride
s_lshl_b64 s[32:33], s[32:33], 1                   // scale by bpe
s_add_u32 s[sgprSrdC+0], s[sgprSrdC+0], s32        // add lo to SRD
s_addc_u32 s[sgprSrdC+1], s[sgprSrdC+1], s33       // add hi to SRD
s_mul_hi_u32 s33, s34, s[sgprStrideD1J]            // Scale s34 by Stride
s_mul_i32 s32, s34, s[sgprStrideD1J]               // Scale s34 by Stride
s_lshl_b64 s[32:33], s[32:33], 1                   // scale by bpe
s_add_u32 s[sgprSrdD+0], s[sgprSrdD+0], s32        // add lo to SRD
s_addc_u32 s[sgprSrdD+1], s[sgprSrdD+1], s33       // add hi to SRD

s_mul_hi_u32 s33, s[sgprWorkGroup2], s[sgprStrideCK] // CScale s[sgprWorkGroup2] by Stride
s_mul_i32 s32, s[sgprWorkGroup2], s[sgprStrideCK]  // CScale s[sgprWorkGroup2] by Stride
s_lshl_b64 s[32:33], s[32:33], 1                   // scale by bpe
s_add_u32 s[sgprSrdC+0], s[sgprSrdC+0], s32        // add lo to SRD
s_addc_u32 s[sgprSrdC+1], s[sgprSrdC+1], s33       // add hi to SRD
s_mul_hi_u32 s33, s[sgprWorkGroup2], s[sgprStrideDK] // Scale s[sgprWorkGroup2] by Stride
s_mul_i32 s32, s[sgprWorkGroup2], s[sgprStrideDK]  // Scale s[sgprWorkGroup2] by Stride
s_lshl_b64 s[32:33], s[32:33], 1                   // scale by bpe
s_add_u32 s[sgprSrdD+0], s[sgprSrdD+0], s32        // add lo to SRD
s_addc_u32 s[sgprSrdD+1], s[sgprSrdD+1], s33       // add hi to SRD


	;; [unrolled: 1-line block ×3, first 2 shown]
/* initC: remove C-tile 0-16 from pool */

/* initC: remove AB-tile 16-24 from pool */
v_mov_b32 v[vgprValuC+0], 0x0                      // initC
v_mov_b32 v[vgprValuC+1], 0x0                      // initC
	;; [unrolled: 1-line block ×10, first 2 shown]
v_mov_b32 v[vgprValuC+10], 0x0                     // initC
v_mov_b32 v[vgprValuC+11], 0x0                     // initC
	;; [unrolled: 1-line block ×6, first 2 shown]

s_cmp_eq_u32 s[sgprLoopCounterL], 0                // at last iteration?

/* after InitC, skip to end of prefetch last iter if numIter==0 */
s_cbranch_scc0 label_NoBranch_11                   // Only branch on scc1
s_getpc_B64 s[32:33]                               // addr of next instr
s_add_i32 s34, PrefetchGlobalLastIterEnd_5, 0x4    // target branch offset
s_add_u32 s32, s32, s34                            // add target branch offset
s_addc_u32 s33, s33, 0                             // add high and carry
s_setpc_b64 s[32:33]                               // branch to PrefetchGlobalLastIterEnd_5
label_NoBranch_11:

s_waitcnt vmcnt(0)                                 // lgkmcnt=-1 vmcnt=0 8wait for global read


/* local write a */
v_cvt_f32_f16 v[vgprG2Lpipe0], v[vgprG2LA+0]       // 
v_cvt_f32_f16 v[vgprG2Lpipe1], v[vgprG2LA+0], src0_sel:WORD_1 // 
v_pack_b32_f16 v[vgprG2LA+0], v[vgprG2Lpipe0], v[vgprG2Lpipe1], op_sel:[1,1,0] // 
v_cvt_f32_f16 v[vgprG2Lpipe0], v[vgprG2LA+1]       // 
v_cvt_f32_f16 v[vgprG2Lpipe1], v[vgprG2LA+1], src0_sel:WORD_1 // 
v_pack_b32_f16 v[vgprG2LA+1], v[vgprG2Lpipe0], v[vgprG2Lpipe1], op_sel:[1,1,0] // 
_ds_store_b64 v[vgprLocalWriteAddrA], v[vgprG2LA+0:vgprG2LA+0+1] offset:0 // lwoA_0_0_0_0 = (0*LSCA) + (0*LSPA)(*MT0I+PAD) = 0

/* local write b */
v_cvt_f32_f16 v[vgprG2Lpipe0], v[vgprG2LB+0]       // 
v_cvt_f32_f16 v[vgprG2Lpipe1], v[vgprG2LB+0], src0_sel:WORD_1 // 
v_pack_b32_f16 v[vgprG2LB+0], v[vgprG2Lpipe0], v[vgprG2Lpipe1], op_sel:[1,1,0] // 
v_cvt_f32_f16 v[vgprG2Lpipe0], v[vgprG2LB+1]       // 
v_cvt_f32_f16 v[vgprG2Lpipe1], v[vgprG2LB+1], src0_sel:WORD_1 // 
v_pack_b32_f16 v[vgprG2LB+1], v[vgprG2Lpipe0], v[vgprG2Lpipe1], op_sel:[1,1,0] // 
_ds_store_b64 v[vgprLocalWriteAddrB], v[vgprG2LB+0:vgprG2LB+0+1] offset:0 // lwoB_0_0_0_0 = (0*LSCB) + (0*LSPB)(*MT1J+PAD) = 0


/* local write swap a */

v_xor_b32 v[vgprLocalWriteAddrA+0], 0x1000, v[vgprLocalWriteAddrA+0] // swap Red Blk


/* local write swap b */

v_xor_b32 v[vgprLocalWriteAddrB+0], 0x1000, v[vgprLocalWriteAddrB+0] // swap Red Blk


	;; [unrolled: 1-line block ×3, first 2 shown]
s_cmp_eq_u32 s[sgprLoopCounterL] 0x1               // PGR=2 but only 1 loop
s_cbranch_scc1 label_0012                          // PGR=2 but only 1 loop


_buffer_load_b64 v[vgprG2LA+0:vgprG2LA+0+1], v[vgprGlobalReadOffsetA+0], s[sgprSrdA:sgprSrdA+3], 0, offen offset:0 // G -> Reg 0_0_0_0


_buffer_load_b64 v[vgprG2LB+0:vgprG2LB+0+1], v[vgprGlobalReadOffsetB+0], s[sgprSrdB:sgprSrdB+3], 0, offen offset:0 // G -> Reg 0_0_0_0

label_0012:                                        // 


	;; [unrolled: 1-line block ×3, first 2 shown]
/******************************************/
/* Unrolled Loop(s) - Begin               */
/******************************************/

openLoopL_13:
s_cmp_eq_u32 s[sgprLoopCounterL], 0x1              // LoopCounterL < EndCounter
s_cbranch_scc1 label_0014                          // PGR=2 but only 1 loop, toPGR1
s_cmp_le_u32 s[sgprLoopCounterL], 0x2              // LoopCounterL < EndCounter
s_cbranch_scc1 LoopEndL_2                          // do not enter LoopL
LoopBeginL_1:


/******************************************/
/* Unrolled Loop 1/1 - Begin              */
/******************************************/

label_0015: // LoopCopy1 

s_waitcnt lgkmcnt(0)                               // lgkmcnt=0 vmcnt=-11wait for local write

// Skip force waitcnt0
s_barrier //4sync for global read


/* Begin Each Unroll: Check VGPR.checkin for INT8 LW */


	;; [unrolled: 1-line block ×3, first 2 shown]
/* iter 0 */

/*  grEndMfmaIndex:1, lwStartMfmaIndex:1, lwEndMfmaIndex:1  */
/*  numMfmaForLR:0, barrierMfmaIndex:0, LocalWritePerMfma:2.000 */
/*  mfmaIndex:0  */
_ds_load_u16 v[vgprValuA_X0_I0+0], v[vgprLocalReadAddrA] offset:0 // L -> Reg lro=0 swapByteOffset=0 ti=64 vIdx=0 rIdx=0 oIdx=0 buffer=0 iui=0
_ds_load_u16_d16_hi v37, v[vgprLocalReadAddrA] offset:128 // L -> Reg lro=0 swapByteOffset=0 ti=64 vIdx=0 rIdx=1 oIdx=0 buffer=0 iui=0
_ds_load_u16 v[vgprValuA_X0_I0+1], v[vgprLocalReadAddrA] offset:256 // L -> Reg lro=0 swapByteOffset=0 ti=64 vIdx=0 rIdx=2 oIdx=0 buffer=0 iui=0
_ds_load_u16_d16_hi v38, v[vgprLocalReadAddrA] offset:384 // L -> Reg lro=0 swapByteOffset=0 ti=64 vIdx=0 rIdx=3 oIdx=0 buffer=0 iui=0
_ds_load_u16 v[vgprValuB_X0_I0+0], v[vgprLocalReadAddrB] offset:0 // L -> Reg lro=0 swapByteOffset=0 ti=64 vIdx=0 rIdx=0 oIdx=0 buffer=0 iui=0
_ds_load_u16_d16_hi v39, v[vgprLocalReadAddrB] offset:128 // L -> Reg lro=0 swapByteOffset=0 ti=64 vIdx=0 rIdx=1 oIdx=0 buffer=0 iui=0
_ds_load_u16 v[vgprValuB_X0_I0+1], v[vgprLocalReadAddrB] offset:256 // L -> Reg lro=0 swapByteOffset=0 ti=64 vIdx=0 rIdx=2 oIdx=0 buffer=0 iui=0
_ds_load_u16_d16_hi v40, v[vgprLocalReadAddrB] offset:384 // L -> Reg lro=0 swapByteOffset=0 ti=64 vIdx=0 rIdx=3 oIdx=0 buffer=0 iui=0

/* global read inc A loopL */
s_add_u32 s[sgprSrdA+0], s[sgprSrdA+0], s[sgprGlobalReadIncsA+0] // gra SRD += inc(lower)
s_addc_u32  s[sgprSrdA+1], s[sgprSrdA+1], 0        // gra SRD += inc(upper)
s_sub_u32 s[sgprShadowLimitA+0], s[sgprShadowLimitA+0], s[sgprGlobalReadIncsA+0] // limit -= inc)
s_subb_u32 s[sgprShadowLimitA+1], s[sgprShadowLimitA+1], 0 // limit -= inc)
s_cmp_eq_u32 s[sgprShadowLimitA+1], 0              // are we within 2^32?
s_cmov_b32 s[sgprSrdA+2], s[sgprShadowLimitA+0]    // Move shadow to real if we are within 2^32

/* global read inc B loopL */
s_add_u32 s[sgprSrdB+0], s[sgprSrdB+0], s[sgprGlobalReadIncsB+0] // gra SRD += inc(lower)
s_waitcnt lgkmcnt(0)                               // lgkmcnt=0 vmcnt=-1wait for prior local read local write old=0, new=0 newLW=0 newLR=0
/* pack scheduling: packAIdx:2, packBIdx:2 */
v_or_b32 v[vgprValuA_X0_I0+0], v[vgprValuA_X0_I0+0], v37 // pack two half Vgpr to one Vgpr
v_or_b32 v[vgprValuA_X0_I0+1], v[vgprValuA_X0_I0+1], v38 // pack two half Vgpr to one Vgpr
v_or_b32 v[vgprValuB_X0_I0+0], v[vgprValuB_X0_I0+0], v39 // pack two half Vgpr to one Vgpr
v_or_b32 v[vgprValuB_X0_I0+1], v[vgprValuB_X0_I0+1], v40 // pack two half Vgpr to one Vgpr
s_nop  1                                           // VALU packing writes to be consumed by matrix instruction
v_mfma_f32_32x32x8bf16_1k v[0+0:15+0], v[vgprValuB_X0_I0+0+0+0:vgprValuB_X0_I0+0+0+0+1], v[vgprValuA_X0_I0+0+0+0:vgprValuA_X0_I0+0+0+0+1], v[0:15]
/* numPrefetchIter=0 */
/* dataAtIterA=0 numReadsIterA=1 skipReadsIterA=0 readsPerIterA=4 */
/* dataAtIterB=0 numReadsIterB=1 skipReadsIterB=0 readsPerIterB=4 */


/* iter 1 (reset local read pointers iteration)  (swap and reset local write pointers iteration)  (swap local read pointers iteration)  */

/*  grEndMfmaIndex:1, lwStartMfmaIndex:1, lwEndMfmaIndex:1  */
/*  numMfmaForLR:0, barrierMfmaIndex:0, LocalWritePerMfma:2.000 */
/*  mfmaIndex:1  */
_ds_load_u16 v[vgprValuA_X1_I0+0], v[vgprLocalReadAddrA] offset:1024 // L -> Reg lro=512 swapByteOffset=0 ti=64 vIdx=0 rIdx=0 oIdx=0 buffer=1 iui=0
_ds_load_u16_d16_hi v37, v[vgprLocalReadAddrA] offset:1152 // L -> Reg lro=512 swapByteOffset=0 ti=64 vIdx=0 rIdx=1 oIdx=0 buffer=1 iui=0
_ds_load_u16 v[vgprValuA_X1_I0+1], v[vgprLocalReadAddrA] offset:1280 // L -> Reg lro=512 swapByteOffset=0 ti=64 vIdx=0 rIdx=2 oIdx=0 buffer=1 iui=0
_ds_load_u16_d16_hi v38, v[vgprLocalReadAddrA] offset:1408 // L -> Reg lro=512 swapByteOffset=0 ti=64 vIdx=0 rIdx=3 oIdx=0 buffer=1 iui=0
_ds_load_u16 v[vgprValuB_X1_I0+0], v[vgprLocalReadAddrB] offset:1024 // L -> Reg lro=512 swapByteOffset=0 ti=64 vIdx=0 rIdx=0 oIdx=0 buffer=1 iui=0
_ds_load_u16_d16_hi v39, v[vgprLocalReadAddrB] offset:1152 // L -> Reg lro=512 swapByteOffset=0 ti=64 vIdx=0 rIdx=1 oIdx=0 buffer=1 iui=0
_ds_load_u16 v[vgprValuB_X1_I0+1], v[vgprLocalReadAddrB] offset:1280 // L -> Reg lro=512 swapByteOffset=0 ti=64 vIdx=0 rIdx=2 oIdx=0 buffer=1 iui=0
_ds_load_u16_d16_hi v40, v[vgprLocalReadAddrB] offset:1408 // L -> Reg lro=512 swapByteOffset=0 ti=64 vIdx=0 rIdx=3 oIdx=0 buffer=1 iui=0
s_addc_u32  s[sgprSrdB+1], s[sgprSrdB+1], 0        // gra SRD += inc(upper)
s_sub_u32 s[sgprShadowLimitB+0], s[sgprShadowLimitB+0], s[sgprGlobalReadIncsB+0] // limit -= inc)
s_subb_u32 s[sgprShadowLimitB+1], s[sgprShadowLimitB+1], 0 // limit -= inc)
s_cmp_eq_u32 s[sgprShadowLimitB+1], 0              // are we within 2^32?
s_cmov_b32 s[sgprSrdB+2], s[sgprShadowLimitB+0]    // Move shadow to real if we are within 2^32
/* sched write - iter 1 writesPerItem=1 */
s_waitcnt vmcnt(0)                                 // lgkmcnt=-1 vmcnt=0wait for global read before writing to local
v_cvt_f32_f16 v[vgprG2Lpipe0], v[vgprG2LA+0]       // 
v_cvt_f32_f16 v[vgprG2Lpipe1], v[vgprG2LA+0], src0_sel:WORD_1 // 
v_pack_b32_f16 v[vgprG2LA+0], v[vgprG2Lpipe0], v[vgprG2Lpipe1], op_sel:[1,1,0] // 
v_cvt_f32_f16 v[vgprG2Lpipe0], v[vgprG2LA+1]       // 
v_cvt_f32_f16 v[vgprG2Lpipe1], v[vgprG2LA+1], src0_sel:WORD_1 // 
v_pack_b32_f16 v[vgprG2LA+1], v[vgprG2Lpipe0], v[vgprG2Lpipe1], op_sel:[1,1,0] // 
_ds_store_b64 v[vgprLocalWriteAddrA], v[vgprG2LA+0:vgprG2LA+0+1] offset:0 // lwoA_0_0_0_0 = (0*LSCA) + (0*LSPA)(*MT0I+PAD) = 0
_buffer_load_b64 v[vgprG2LA+0:vgprG2LA+0+1], v[vgprGlobalReadOffsetA+0], s[sgprSrdA:sgprSrdA+3], 0, offen offset:0 // G -> Reg 0_0_0_0
/* sched write - iter 1 writesPerItem=1 */
s_waitcnt vmcnt(0)                                 // lgkmcnt=-1 vmcnt=0wait for global read before writing to local
v_cvt_f32_f16 v[vgprG2Lpipe0], v[vgprG2LB+0]       // 
v_cvt_f32_f16 v[vgprG2Lpipe1], v[vgprG2LB+0], src0_sel:WORD_1 // 
v_pack_b32_f16 v[vgprG2LB+0], v[vgprG2Lpipe0], v[vgprG2Lpipe1], op_sel:[1,1,0] // 
v_cvt_f32_f16 v[vgprG2Lpipe0], v[vgprG2LB+1]       // 
v_cvt_f32_f16 v[vgprG2Lpipe1], v[vgprG2LB+1], src0_sel:WORD_1 // 
v_pack_b32_f16 v[vgprG2LB+1], v[vgprG2Lpipe0], v[vgprG2Lpipe1], op_sel:[1,1,0] // 
_ds_store_b64 v[vgprLocalWriteAddrB], v[vgprG2LB+0:vgprG2LB+0+1] offset:0 // lwoB_0_0_0_0 = (0*LSCB) + (0*LSPB)(*MT1J+PAD) = 0
_buffer_load_b64 v[vgprG2LB+0:vgprG2LB+0+1], v[vgprGlobalReadOffsetB+0], s[sgprSrdB:sgprSrdB+3], 0, offen offset:0 // G -> Reg 0_0_0_0

/* local write swap offsets a */
v_xor_b32 v[vgprLocalWriteAddrA+0], 0x1000, v[vgprLocalWriteAddrA+0] // swap Red Blk

/* local write swap offsets b */
v_xor_b32 v[vgprLocalWriteAddrB+0], 0x1000, v[vgprLocalWriteAddrB+0] // swap Red Blk

/* local read swap offsets a */
v_xor_b32 v[vgprLocalReadAddrA], 0x1000, v[vgprLocalReadAddrA] // swap Red Blk

/* local read swap offsets b */
v_xor_b32 v[vgprLocalReadAddrB], 0x1000, v[vgprLocalReadAddrB] // swap Red Blk

/* local read init pointers a */

/* localReadInitPointers */

/* local read init pointers b */

/* localReadInitPointers */
s_waitcnt lgkmcnt(2)                               // lgkmcnt=0 vmcnt=-1wait for prior local read local write old=0, new=2 newLW=2 newLR=0
/* pack scheduling: packAIdx:2, packBIdx:2 */
v_or_b32 v[vgprValuA_X1_I0+0], v[vgprValuA_X1_I0+0], v37 // pack two half Vgpr to one Vgpr
v_or_b32 v[vgprValuA_X1_I0+1], v[vgprValuA_X1_I0+1], v38 // pack two half Vgpr to one Vgpr
v_or_b32 v[vgprValuB_X1_I0+0], v[vgprValuB_X1_I0+0], v39 // pack two half Vgpr to one Vgpr
v_or_b32 v[vgprValuB_X1_I0+1], v[vgprValuB_X1_I0+1], v40 // pack two half Vgpr to one Vgpr
s_nop  1                                           // VALU packing writes to be consumed by matrix instruction
v_mfma_f32_32x32x8bf16_1k v[0+0:15+0], v[vgprValuB_X1_I0+0+0+0:vgprValuB_X1_I0+0+0+0+1], v[vgprValuA_X1_I0+0+0+0:vgprValuA_X1_I0+0+0+0+1], v[0:15]
/* numPrefetchIter=0 */
/* dataAtIterA=1 numReadsIterA=2 skipReadsIterA=0 readsPerIterA=4 */
/* dataAtIterB=1 numReadsIterB=2 skipReadsIterB=0 readsPerIterB=4 */


/******************************************/
/* Unrolled Loop - End                    */
/******************************************/


/* closeLoop loopL finalLoop=1 tailLoop=0 */
s_sub_u32 s[sgprLoopCounterL], s[sgprLoopCounterL], 1 // dec counterL
s_cmp_eq_i32 s[sgprLoopCounterL], 0x2              // counterL==2
s_cbranch_scc0 LoopBeginL_1                        // restart LoopL
LoopEndL_2:


/* Before NLL: Check VGPR.checkin for INT8 LW */


/******************************************/
/* Ord. NoGlobalLoadLoop - Begin                                      */
/******************************************/


s_waitcnt lgkmcnt(0)                               // lgkmcnt=0 vmcnt=-14wait for local write

// Skip force waitcnt0
s_barrier //


/* iter 0 */

/*  grEndMfmaIndex:1, lwStartMfmaIndex:1, lwEndMfmaIndex:1  */
/*  numMfmaForLR:0, barrierMfmaIndex:0, LocalWritePerMfma:2.000 */
/*  mfmaIndex:0  */
_ds_load_u16 v[vgprValuA_X0_I0+0], v[vgprLocalReadAddrA] offset:0 // L -> Reg lro=0 swapByteOffset=0 ti=64 vIdx=0 rIdx=0 oIdx=0 buffer=0 iui=0
_ds_load_u16_d16_hi v37, v[vgprLocalReadAddrA] offset:128 // L -> Reg lro=0 swapByteOffset=0 ti=64 vIdx=0 rIdx=1 oIdx=0 buffer=0 iui=0
_ds_load_u16 v[vgprValuA_X0_I0+1], v[vgprLocalReadAddrA] offset:256 // L -> Reg lro=0 swapByteOffset=0 ti=64 vIdx=0 rIdx=2 oIdx=0 buffer=0 iui=0
_ds_load_u16_d16_hi v38, v[vgprLocalReadAddrA] offset:384 // L -> Reg lro=0 swapByteOffset=0 ti=64 vIdx=0 rIdx=3 oIdx=0 buffer=0 iui=0
_ds_load_u16 v[vgprValuB_X0_I0+0], v[vgprLocalReadAddrB] offset:0 // L -> Reg lro=0 swapByteOffset=0 ti=64 vIdx=0 rIdx=0 oIdx=0 buffer=0 iui=0
_ds_load_u16_d16_hi v39, v[vgprLocalReadAddrB] offset:128 // L -> Reg lro=0 swapByteOffset=0 ti=64 vIdx=0 rIdx=1 oIdx=0 buffer=0 iui=0
_ds_load_u16 v[vgprValuB_X0_I0+1], v[vgprLocalReadAddrB] offset:256 // L -> Reg lro=0 swapByteOffset=0 ti=64 vIdx=0 rIdx=2 oIdx=0 buffer=0 iui=0
_ds_load_u16_d16_hi v40, v[vgprLocalReadAddrB] offset:384 // L -> Reg lro=0 swapByteOffset=0 ti=64 vIdx=0 rIdx=3 oIdx=0 buffer=0 iui=0

/* global read inc A loopL */
s_add_u32 s[sgprSrdA+0], s[sgprSrdA+0], s[sgprGlobalReadIncsA+0] // gra SRD += inc(lower)
s_addc_u32  s[sgprSrdA+1], s[sgprSrdA+1], 0        // gra SRD += inc(upper)
s_sub_u32 s[sgprShadowLimitA+0], s[sgprShadowLimitA+0], s[sgprGlobalReadIncsA+0] // limit -= inc)
s_subb_u32 s[sgprShadowLimitA+1], s[sgprShadowLimitA+1], 0 // limit -= inc)
s_cmp_eq_u32 s[sgprShadowLimitA+1], 0              // are we within 2^32?
s_cmov_b32 s[sgprSrdA+2], s[sgprShadowLimitA+0]    // Move shadow to real if we are within 2^32

/* global read inc B loopL */
s_add_u32 s[sgprSrdB+0], s[sgprSrdB+0], s[sgprGlobalReadIncsB+0] // gra SRD += inc(lower)
s_waitcnt lgkmcnt(0)                               // lgkmcnt=0 vmcnt=-1wait for prior local read local write old=0, new=0 newLW=0 newLR=0
/* pack scheduling: packAIdx:2, packBIdx:2 */
v_or_b32 v[vgprValuA_X0_I0+0], v[vgprValuA_X0_I0+0], v37 // pack two half Vgpr to one Vgpr
v_or_b32 v[vgprValuA_X0_I0+1], v[vgprValuA_X0_I0+1], v38 // pack two half Vgpr to one Vgpr
v_or_b32 v[vgprValuB_X0_I0+0], v[vgprValuB_X0_I0+0], v39 // pack two half Vgpr to one Vgpr
v_or_b32 v[vgprValuB_X0_I0+1], v[vgprValuB_X0_I0+1], v40 // pack two half Vgpr to one Vgpr
s_nop  1                                           // VALU packing writes to be consumed by matrix instruction
v_mfma_f32_32x32x8bf16_1k v[0+0:15+0], v[vgprValuB_X0_I0+0+0+0:vgprValuB_X0_I0+0+0+0+1], v[vgprValuA_X0_I0+0+0+0:vgprValuA_X0_I0+0+0+0+1], v[0:15]
/* numPrefetchIter=0 */
/* dataAtIterA=0 numReadsIterA=1 skipReadsIterA=0 readsPerIterA=4 */
/* dataAtIterB=0 numReadsIterB=1 skipReadsIterB=0 readsPerIterB=4 */


/* iter 1 (reset local read pointers iteration)  (swap and reset local write pointers iteration)  (swap local read pointers iteration)  */

/*  grEndMfmaIndex:1, lwStartMfmaIndex:1, lwEndMfmaIndex:1  */
/*  numMfmaForLR:0, barrierMfmaIndex:0, LocalWritePerMfma:2.000 */
/*  mfmaIndex:1  */
_ds_load_u16 v[vgprValuA_X1_I0+0], v[vgprLocalReadAddrA] offset:1024 // L -> Reg lro=512 swapByteOffset=0 ti=64 vIdx=0 rIdx=0 oIdx=0 buffer=1 iui=0
_ds_load_u16_d16_hi v37, v[vgprLocalReadAddrA] offset:1152 // L -> Reg lro=512 swapByteOffset=0 ti=64 vIdx=0 rIdx=1 oIdx=0 buffer=1 iui=0
_ds_load_u16 v[vgprValuA_X1_I0+1], v[vgprLocalReadAddrA] offset:1280 // L -> Reg lro=512 swapByteOffset=0 ti=64 vIdx=0 rIdx=2 oIdx=0 buffer=1 iui=0
_ds_load_u16_d16_hi v38, v[vgprLocalReadAddrA] offset:1408 // L -> Reg lro=512 swapByteOffset=0 ti=64 vIdx=0 rIdx=3 oIdx=0 buffer=1 iui=0
_ds_load_u16 v[vgprValuB_X1_I0+0], v[vgprLocalReadAddrB] offset:1024 // L -> Reg lro=512 swapByteOffset=0 ti=64 vIdx=0 rIdx=0 oIdx=0 buffer=1 iui=0
_ds_load_u16_d16_hi v39, v[vgprLocalReadAddrB] offset:1152 // L -> Reg lro=512 swapByteOffset=0 ti=64 vIdx=0 rIdx=1 oIdx=0 buffer=1 iui=0
_ds_load_u16 v[vgprValuB_X1_I0+1], v[vgprLocalReadAddrB] offset:1280 // L -> Reg lro=512 swapByteOffset=0 ti=64 vIdx=0 rIdx=2 oIdx=0 buffer=1 iui=0
_ds_load_u16_d16_hi v40, v[vgprLocalReadAddrB] offset:1408 // L -> Reg lro=512 swapByteOffset=0 ti=64 vIdx=0 rIdx=3 oIdx=0 buffer=1 iui=0
s_addc_u32  s[sgprSrdB+1], s[sgprSrdB+1], 0        // gra SRD += inc(upper)
s_sub_u32 s[sgprShadowLimitB+0], s[sgprShadowLimitB+0], s[sgprGlobalReadIncsB+0] // limit -= inc)
s_subb_u32 s[sgprShadowLimitB+1], s[sgprShadowLimitB+1], 0 // limit -= inc)
s_cmp_eq_u32 s[sgprShadowLimitB+1], 0              // are we within 2^32?
s_cmov_b32 s[sgprSrdB+2], s[sgprShadowLimitB+0]    // Move shadow to real if we are within 2^32
/* sched write - iter 1 writesPerItem=1 */
s_waitcnt vmcnt(0)                                 // lgkmcnt=-1 vmcnt=0wait for global read before writing to local
v_cvt_f32_f16 v[vgprG2Lpipe0], v[vgprG2LA+0]       // 
v_cvt_f32_f16 v[vgprG2Lpipe1], v[vgprG2LA+0], src0_sel:WORD_1 // 
v_pack_b32_f16 v[vgprG2LA+0], v[vgprG2Lpipe0], v[vgprG2Lpipe1], op_sel:[1,1,0] // 
v_cvt_f32_f16 v[vgprG2Lpipe0], v[vgprG2LA+1]       // 
v_cvt_f32_f16 v[vgprG2Lpipe1], v[vgprG2LA+1], src0_sel:WORD_1 // 
v_pack_b32_f16 v[vgprG2LA+1], v[vgprG2Lpipe0], v[vgprG2Lpipe1], op_sel:[1,1,0] // 
_ds_store_b64 v[vgprLocalWriteAddrA], v[vgprG2LA+0:vgprG2LA+0+1] offset:0 // lwoA_0_0_0_0 = (0*LSCA) + (0*LSPA)(*MT0I+PAD) = 0
/* sched write - iter 1 writesPerItem=1 */
s_waitcnt vmcnt(0)                                 // lgkmcnt=-1 vmcnt=0wait for global read before writing to local
v_cvt_f32_f16 v[vgprG2Lpipe0], v[vgprG2LB+0]       // 
v_cvt_f32_f16 v[vgprG2Lpipe1], v[vgprG2LB+0], src0_sel:WORD_1 // 
v_pack_b32_f16 v[vgprG2LB+0], v[vgprG2Lpipe0], v[vgprG2Lpipe1], op_sel:[1,1,0] // 
v_cvt_f32_f16 v[vgprG2Lpipe0], v[vgprG2LB+1]       // 
v_cvt_f32_f16 v[vgprG2Lpipe1], v[vgprG2LB+1], src0_sel:WORD_1 // 
v_pack_b32_f16 v[vgprG2LB+1], v[vgprG2Lpipe0], v[vgprG2Lpipe1], op_sel:[1,1,0] // 
_ds_store_b64 v[vgprLocalWriteAddrB], v[vgprG2LB+0:vgprG2LB+0+1] offset:0 // lwoB_0_0_0_0 = (0*LSCB) + (0*LSPB)(*MT1J+PAD) = 0

/* local write swap offsets a */
v_xor_b32 v[vgprLocalWriteAddrA+0], 0x1000, v[vgprLocalWriteAddrA+0] // swap Red Blk

/* local write swap offsets b */
v_xor_b32 v[vgprLocalWriteAddrB+0], 0x1000, v[vgprLocalWriteAddrB+0] // swap Red Blk

/* local read swap offsets a */
v_xor_b32 v[vgprLocalReadAddrA], 0x1000, v[vgprLocalReadAddrA] // swap Red Blk

/* local read swap offsets b */
v_xor_b32 v[vgprLocalReadAddrB], 0x1000, v[vgprLocalReadAddrB] // swap Red Blk

/* local read init pointers a */

/* localReadInitPointers */

/* local read init pointers b */

/* localReadInitPointers */
s_waitcnt lgkmcnt(2)                               // lgkmcnt=0 vmcnt=-1wait for prior local read local write old=0, new=2 newLW=2 newLR=0
/* pack scheduling: packAIdx:2, packBIdx:2 */
v_or_b32 v[vgprValuA_X1_I0+0], v[vgprValuA_X1_I0+0], v37 // pack two half Vgpr to one Vgpr
v_or_b32 v[vgprValuA_X1_I0+1], v[vgprValuA_X1_I0+1], v38 // pack two half Vgpr to one Vgpr
v_or_b32 v[vgprValuB_X1_I0+0], v[vgprValuB_X1_I0+0], v39 // pack two half Vgpr to one Vgpr
v_or_b32 v[vgprValuB_X1_I0+1], v[vgprValuB_X1_I0+1], v40 // pack two half Vgpr to one Vgpr
s_nop  1                                           // VALU packing writes to be consumed by matrix instruction
v_mfma_f32_32x32x8bf16_1k v[0+0:15+0], v[vgprValuB_X1_I0+0+0+0:vgprValuB_X1_I0+0+0+0+1], v[vgprValuA_X1_I0+0+0+0:vgprValuA_X1_I0+0+0+0+1], v[0:15]
/* numPrefetchIter=0 */
/* dataAtIterA=1 numReadsIterA=2 skipReadsIterA=0 readsPerIterA=4 */
/* dataAtIterB=1 numReadsIterB=2 skipReadsIterB=0 readsPerIterB=4 */

label_0014:


/******************************************/
/* Opt. NoLoadLoop Without PAP - Begin                                      */
/******************************************/

s_cmpk_eq_u32 s[sgprBeta], 0x0                     // Beta == 0
s_cbranch_scc0 OptNLL_End_16                       // Branch if Beta is not zero

s_cmp_eq_u32 s[sgprAlpha], 1.0                     // Alpha == 1.0 ?
s_cbranch_scc0 OptNLL_End_16                       // branch if alpha != 1

s_and_b32 s32, 63, s[sgprSizeI]                    // s32 = s[sgprSizeI] % 64
s_add_u32 s33, -0x1, s[sgprNumWorkGroups0]         // 
s_cmp_ge_u32 s[sgprWorkGroup0], s33                // wg0 >= nwg0-1 ?
s_cselect_b32 s32, s32, 0                          // set rMT0
s_cmpk_gt_u32 s32, 0x0                             // rMT0 > 0
s_cbranch_scc1 OptNLL_End_16                       // jump if edges required
s_and_b32 s32, 63, s[sgprSizeJ]                    // s32 = s[sgprSizeJ] % 64
s_add_u32 s33, -0x1, s[sgprNumWorkGroups1]         // 
s_cmp_ge_u32 s[sgprWorkGroup1], s33                // wg1 >= nwg1-1
s_cselect_b32 s32, s32, 0                          // set rMT1
s_cmpk_gt_u32 s32, 0x0                             // rMT1 > 0
s_cbranch_scc1 OptNLL_End_16                       // jump if edges required

s_and_b32 s33, 15, s[sgprSizesSum+0]               // s33 = s[sgprSizesSum+0] % 16
s_cmp_eq_u32 s33, 0x0                              // numIterL == 0
s_cbranch_scc0 OptNLL_End_16                       // skip if tail loop required

s_waitcnt lgkmcnt(0)                               // lgkmcnt=0 vmcnt=-14wait for local write

// Skip force waitcnt0
s_barrier //


	;; [unrolled: 1-line block ×3, first 2 shown]
/* iter 0 (last unrolled loop) */

/*  grEndMfmaIndex:0, lwStartMfmaIndex:1, lwEndMfmaIndex:1  */
/*  numMfmaForLR:0, barrierMfmaIndex:0, LocalWritePerMfma:2.000 */
/*  mfmaIndex:0  */
_ds_load_u16 v[vgprValuA_X0_I0+0], v[vgprLocalReadAddrA] offset:0 // L -> Reg lro=0 swapByteOffset=0 ti=64 vIdx=0 rIdx=0 oIdx=0 buffer=0 iui=0
_ds_load_u16_d16_hi v37, v[vgprLocalReadAddrA] offset:128 // L -> Reg lro=0 swapByteOffset=0 ti=64 vIdx=0 rIdx=1 oIdx=0 buffer=0 iui=0
_ds_load_u16 v[vgprValuA_X0_I0+1], v[vgprLocalReadAddrA] offset:256 // L -> Reg lro=0 swapByteOffset=0 ti=64 vIdx=0 rIdx=2 oIdx=0 buffer=0 iui=0
_ds_load_u16_d16_hi v38, v[vgprLocalReadAddrA] offset:384 // L -> Reg lro=0 swapByteOffset=0 ti=64 vIdx=0 rIdx=3 oIdx=0 buffer=0 iui=0
_ds_load_u16 v[vgprValuB_X0_I0+0], v[vgprLocalReadAddrB] offset:0 // L -> Reg lro=0 swapByteOffset=0 ti=64 vIdx=0 rIdx=0 oIdx=0 buffer=0 iui=0
_ds_load_u16_d16_hi v39, v[vgprLocalReadAddrB] offset:128 // L -> Reg lro=0 swapByteOffset=0 ti=64 vIdx=0 rIdx=1 oIdx=0 buffer=0 iui=0
_ds_load_u16 v[vgprValuB_X0_I0+1], v[vgprLocalReadAddrB] offset:256 // L -> Reg lro=0 swapByteOffset=0 ti=64 vIdx=0 rIdx=2 oIdx=0 buffer=0 iui=0
_ds_load_u16_d16_hi v40, v[vgprLocalReadAddrB] offset:384 // L -> Reg lro=0 swapByteOffset=0 ti=64 vIdx=0 rIdx=3 oIdx=0 buffer=0 iui=0
s_waitcnt lgkmcnt(0)                               // lgkmcnt=0 vmcnt=-1wait for prior local read local write old=0, new=0 newLW=0 newLR=0
/* pack scheduling: packAIdx:2, packBIdx:2 */
v_or_b32 v[vgprValuA_X0_I0+0], v[vgprValuA_X0_I0+0], v37 // pack two half Vgpr to one Vgpr
v_or_b32 v[vgprValuA_X0_I0+1], v[vgprValuA_X0_I0+1], v38 // pack two half Vgpr to one Vgpr
v_or_b32 v[vgprValuB_X0_I0+0], v[vgprValuB_X0_I0+0], v39 // pack two half Vgpr to one Vgpr
v_or_b32 v[vgprValuB_X0_I0+1], v[vgprValuB_X0_I0+1], v40 // pack two half Vgpr to one Vgpr
s_nop  1                                           // VALU packing writes to be consumed by matrix instruction
v_mfma_f32_32x32x8bf16_1k v[0+0:15+0], v[vgprValuB_X0_I0+0+0+0:vgprValuB_X0_I0+0+0+0+1], v[vgprValuA_X0_I0+0+0+0:vgprValuA_X0_I0+0+0+0+1], v[0:15]
/* numPrefetchIter=0 */
/* dataAtIterA=0 numReadsIterA=1 skipReadsIterA=0 readsPerIterA=4 */
/* dataAtIterB=0 numReadsIterB=1 skipReadsIterB=0 readsPerIterB=4 */


/* iter 1 (last unrolled loop) */

/*  grEndMfmaIndex:0, lwStartMfmaIndex:1, lwEndMfmaIndex:1  */
/*  numMfmaForLR:0, barrierMfmaIndex:0, LocalWritePerMfma:2.000 */
/*  mfmaIndex:1  */
_ds_load_u16 v[vgprValuA_X1_I0+0], v[vgprLocalReadAddrA] offset:1024 // L -> Reg lro=512 swapByteOffset=0 ti=64 vIdx=0 rIdx=0 oIdx=0 buffer=1 iui=0
_ds_load_u16_d16_hi v37, v[vgprLocalReadAddrA] offset:1152 // L -> Reg lro=512 swapByteOffset=0 ti=64 vIdx=0 rIdx=1 oIdx=0 buffer=1 iui=0
_ds_load_u16 v[vgprValuA_X1_I0+1], v[vgprLocalReadAddrA] offset:1280 // L -> Reg lro=512 swapByteOffset=0 ti=64 vIdx=0 rIdx=2 oIdx=0 buffer=1 iui=0
_ds_load_u16_d16_hi v38, v[vgprLocalReadAddrA] offset:1408 // L -> Reg lro=512 swapByteOffset=0 ti=64 vIdx=0 rIdx=3 oIdx=0 buffer=1 iui=0
_ds_load_u16 v[vgprValuB_X1_I0+0], v[vgprLocalReadAddrB] offset:1024 // L -> Reg lro=512 swapByteOffset=0 ti=64 vIdx=0 rIdx=0 oIdx=0 buffer=1 iui=0
_ds_load_u16_d16_hi v39, v[vgprLocalReadAddrB] offset:1152 // L -> Reg lro=512 swapByteOffset=0 ti=64 vIdx=0 rIdx=1 oIdx=0 buffer=1 iui=0
_ds_load_u16 v[vgprValuB_X1_I0+1], v[vgprLocalReadAddrB] offset:1280 // L -> Reg lro=512 swapByteOffset=0 ti=64 vIdx=0 rIdx=2 oIdx=0 buffer=1 iui=0
_ds_load_u16_d16_hi v40, v[vgprLocalReadAddrB] offset:1408 // L -> Reg lro=512 swapByteOffset=0 ti=64 vIdx=0 rIdx=3 oIdx=0 buffer=1 iui=0
s_waitcnt lgkmcnt(0)                               // lgkmcnt=0 vmcnt=-1wait for prior local read local write old=0, new=0 newLW=0 newLR=0
/* pack scheduling: packAIdx:2, packBIdx:2 */
v_or_b32 v[vgprValuA_X1_I0+0], v[vgprValuA_X1_I0+0], v37 // pack two half Vgpr to one Vgpr
v_or_b32 v[vgprValuA_X1_I0+1], v[vgprValuA_X1_I0+1], v38 // pack two half Vgpr to one Vgpr
v_or_b32 v[vgprValuB_X1_I0+0], v[vgprValuB_X1_I0+0], v39 // pack two half Vgpr to one Vgpr
v_or_b32 v[vgprValuB_X1_I0+1], v[vgprValuB_X1_I0+1], v40 // pack two half Vgpr to one Vgpr
s_nop  1                                           // VALU packing writes to be consumed by matrix instruction
v_mfma_f32_32x32x8bf16_1k v[0+0:15+0], v[vgprValuB_X1_I0+0+0+0:vgprValuB_X1_I0+0+0+0+1], v[vgprValuA_X1_I0+0+0+0:vgprValuA_X1_I0+0+0+0+1], v[0:15]
/* numPrefetchIter=0 */
/* dataAtIterA=1 numReadsIterA=2 skipReadsIterA=0 readsPerIterA=4 */
/* dataAtIterB=1 numReadsIterB=2 skipReadsIterB=0 readsPerIterB=4 */

/* Stores for OptNLL */
Summation_End_OptNLL_17:
/* endSummation: add vgpr [16...32) to pool */
.set NumFullBlocks, UNDEF
.set WgmRemainder1, UNDEF
.set MagicNumberWgmRemainder1, UNDEF

/* Mapping of Acc register -> C Vgpr register */

/* Multiply MI out register with Alpha -> C Vgpr register */
/* computeStoreVgprs */
v_lshrrev_b32 v20, 6, v[vgprSerial]                // v20 = v[vgprSerial] / 64
v_and_b32 v17, 63, v[vgprSerial]                   // v17 = v[vgprSerial] % 64
v_lshrrev_b32 v17, 5, v17                          // v17 = v17 / 32
v_lshlrev_b32 v17, 0x2, v17                        // thread0 * continuous_output
v_lshrrev_b32 v21, 1, v20                          // v21 = v20 / 2
v_mul_lo_u32 v21, 0x20, v21                        // wave coordination offset 1
_v_add_lshl_u32 v17, v21, v17, 0                   // coordination 1 = vwb *(wave_id1 + tid1)
v_mul_lo_u32 v18, v17, s[sgprStrideC1J]            //  offset 1
v_mul_lo_u32 v19, v17, s[sgprStrideD1J]            //  offset 1
v_and_b32 v21, 1, v20                              // v21 = v20 % 2
v_mul_lo_u32 v21, 0x20, v21                        // wave coordination offset 0
v_and_b32 v16, 31, v[vgprSerial]                   // v16 = v[vgprSerial] % 32
_v_add_lshl_u32 v16, v21, v16, 0                   // coordination 0 = vwa *(wave_id0 + tid0)
s_mul_i32 s31, 64, s[sgprWorkGroup0]               // wgp0 * MT0
_v_add_u32 v16, s31, v16                           // coord 0 = (tid0/MI_m)*4 + waveG0*MIB_m + MT0*SG0
s_mul_i32 s31, 64, s[sgprWorkGroup1]               // wgp1 * MT1
_v_add_u32 v17, s31, v17                           // coord 1 = (tid0%MI_m) + waveG1*MIB_n + MT1*SG1
GW_B0_E0_20:

/* edge=0, allocate 2 sgpr. perBatchTmpS=2 perBatchMaskS=0 perElementMaskS=0 elementsPerBatch=16 */
/* optSingleColVgpr=1 optSharedColVgpr=0 optSGPRUsage=BufferLoad_Mask optSrdIncForRow=1 */

/******************************************/
/* Global Write Batch #0 (d1,d0,vc1,vc0) = */
/*    (0,0,0,0:vw1); (0,0,1,0:vw1); (0,0,2,0:vw1); (0,0,3,0:vw1); (1,0,0,0:vw1); (1,0,1,0:vw1); (1,0,2,0:vw1); (1,0,3,0:vw1); (2,0,0,0:vw1); (2,0,1,0:vw1); (2,0,2,0:vw1); (2,0,3,0:vw1); (3,0,0,0:vw1); (3,0,1,0:vw1); (3,0,2,0:vw1); (3,0,3,0:vw1) */
/******************************************/

/* calc coords, apply mask, and issue loads (if necessary) */
/* (d1,vc1,d0,vc0)=(0,0,0,0) */
/* (d1,vc1,d0,vc0)=(0,1,0,0) */
	;; [unrolled: 1-line block ×16, first 2 shown]
_v_add_lshl_u32 v22, v19, v16, 0x1                 // optSingleColVgpr scaleToBpe: sharedAddrVgpr <- cinRowPtr + coord0, scaled by BPE. BSHERE:coord0=16, coord0Vgpr=16
v_mov_b32 v[vgprValuC+24], v[vgprValuC+0] // copy MI out reg to vreg[0]
v_mov_b32 v[vgprValuC+25], v[vgprValuC+1] // copy MI out reg to vreg[1]
v_mov_b32 v[vgprValuC+26], v[vgprValuC+2] // copy MI out reg to vreg[2]
v_mov_b32 v[vgprValuC+27], v[vgprValuC+3] // copy MI out reg to vreg[3]
v_mov_b32 v[vgprValuC+28], v[vgprValuC+4] // copy MI out reg to vreg[4]
v_mov_b32 v[vgprValuC+29], v[vgprValuC+5] // copy MI out reg to vreg[5]
v_mov_b32 v[vgprValuC+30], v[vgprValuC+6] // copy MI out reg to vreg[6]
v_mov_b32 v[vgprValuC+31], v[vgprValuC+7] // copy MI out reg to vreg[7]
v_mov_b32 v[vgprValuC+37], v[vgprValuC+8] // copy MI out reg to vreg[8]
v_mov_b32 v[vgprValuC+38], v[vgprValuC+9] // copy MI out reg to vreg[9]
v_mov_b32 v[vgprValuC+39], v[vgprValuC+10] // copy MI out reg to vreg[10]
v_mov_b32 v[vgprValuC+40], v[vgprValuC+11] // copy MI out reg to vreg[11]
v_mov_b32 v[vgprValuC+41], v[vgprValuC+12] // copy MI out reg to vreg[12]
v_mov_b32 v[vgprValuC+42], v[vgprValuC+13] // copy MI out reg to vreg[13]
v_mov_b32 v[vgprValuC+43], v[vgprValuC+14] // copy MI out reg to vreg[14]
v_mov_b32 v[vgprValuC+44], v[vgprValuC+15] // copy MI out reg to vreg[15]

/* apply mask, calc new C and issue writes */
v_cvt_f16_f32 v[vgprValuC+24], v[vgprValuC+24]     // convert C to fp16
_buffer_store_b16 v24, v22, s[sgprSrdD:sgprSrdD+3], 0, offen, offset:0 // store D
v_cvt_f16_f32 v[vgprValuC+25], v[vgprValuC+25]     // convert C to fp16
s_lshl_b32  s32, s[sgprStrideD1J], 1               // incToNextRow: Scale by BPE
s_add_u32  s[sgprSrdD+0], s[sgprSrdD+0], s32       // incToNextRow: gra SRD += inc(lower)
s_addc_u32  s[sgprSrdD+1], s[sgprSrdD+1], 0        // incToNextRow: gra SRD += inc(upper)
_buffer_store_b16 v25, v22, s[sgprSrdD:sgprSrdD+3], 0, offen, offset:0 // store D
v_cvt_f16_f32 v[vgprValuC+26], v[vgprValuC+26]     // convert C to fp16
s_lshl_b32  s32, s[sgprStrideD1J], 1               // incToNextRow: Scale by BPE
s_add_u32  s[sgprSrdD+0], s[sgprSrdD+0], s32       // incToNextRow: gra SRD += inc(lower)
s_addc_u32  s[sgprSrdD+1], s[sgprSrdD+1], 0        // incToNextRow: gra SRD += inc(upper)
_buffer_store_b16 v26, v22, s[sgprSrdD:sgprSrdD+3], 0, offen, offset:0 // store D
v_cvt_f16_f32 v[vgprValuC+27], v[vgprValuC+27]     // convert C to fp16
s_lshl_b32  s32, s[sgprStrideD1J], 1               // incToNextRow: Scale by BPE
s_add_u32  s[sgprSrdD+0], s[sgprSrdD+0], s32       // incToNextRow: gra SRD += inc(lower)
s_addc_u32  s[sgprSrdD+1], s[sgprSrdD+1], 0        // incToNextRow: gra SRD += inc(upper)
_buffer_store_b16 v27, v22, s[sgprSrdD:sgprSrdD+3], 0, offen, offset:0 // store D
v_cvt_f16_f32 v[vgprValuC+28], v[vgprValuC+28]     // convert C to fp16
s_mul_i32 s32, s[sgprStrideD1J], 10                // scale StrideD *= numRows(5) * bpe
s_add_u32  s[sgprSrdD+0], s[sgprSrdD+0], s32       // incToNextRow: gra SRD += inc(lower)
s_addc_u32  s[sgprSrdD+1], s[sgprSrdD+1], 0        // incToNextRow: gra SRD += inc(upper)
_buffer_store_b16 v28, v22, s[sgprSrdD:sgprSrdD+3], 0, offen, offset:0 // store D
v_cvt_f16_f32 v[vgprValuC+29], v[vgprValuC+29]     // convert C to fp16
s_lshl_b32  s32, s[sgprStrideD1J], 1               // incToNextRow: Scale by BPE
s_add_u32  s[sgprSrdD+0], s[sgprSrdD+0], s32       // incToNextRow: gra SRD += inc(lower)
s_addc_u32  s[sgprSrdD+1], s[sgprSrdD+1], 0        // incToNextRow: gra SRD += inc(upper)
_buffer_store_b16 v29, v22, s[sgprSrdD:sgprSrdD+3], 0, offen, offset:0 // store D
v_cvt_f16_f32 v[vgprValuC+30], v[vgprValuC+30]     // convert C to fp16
s_lshl_b32  s32, s[sgprStrideD1J], 1               // incToNextRow: Scale by BPE
s_add_u32  s[sgprSrdD+0], s[sgprSrdD+0], s32       // incToNextRow: gra SRD += inc(lower)
s_addc_u32  s[sgprSrdD+1], s[sgprSrdD+1], 0        // incToNextRow: gra SRD += inc(upper)
_buffer_store_b16 v30, v22, s[sgprSrdD:sgprSrdD+3], 0, offen, offset:0 // store D
v_cvt_f16_f32 v[vgprValuC+31], v[vgprValuC+31]     // convert C to fp16
s_lshl_b32  s32, s[sgprStrideD1J], 1               // incToNextRow: Scale by BPE
s_add_u32  s[sgprSrdD+0], s[sgprSrdD+0], s32       // incToNextRow: gra SRD += inc(lower)
s_addc_u32  s[sgprSrdD+1], s[sgprSrdD+1], 0        // incToNextRow: gra SRD += inc(upper)
_buffer_store_b16 v31, v22, s[sgprSrdD:sgprSrdD+3], 0, offen, offset:0 // store D
v_cvt_f16_f32 v[vgprValuC+37], v[vgprValuC+37]     // convert C to fp16
s_mul_i32 s32, s[sgprStrideD1J], 10                // scale StrideD *= numRows(5) * bpe
s_add_u32  s[sgprSrdD+0], s[sgprSrdD+0], s32       // incToNextRow: gra SRD += inc(lower)
s_addc_u32  s[sgprSrdD+1], s[sgprSrdD+1], 0        // incToNextRow: gra SRD += inc(upper)
	;; [unrolled: 20-line block ×3, first 2 shown]
_buffer_store_b16 v41, v22, s[sgprSrdD:sgprSrdD+3], 0, offen, offset:0 // store D
v_cvt_f16_f32 v[vgprValuC+42], v[vgprValuC+42]     // convert C to fp16
s_lshl_b32  s32, s[sgprStrideD1J], 1               // incToNextRow: Scale by BPE
s_add_u32  s[sgprSrdD+0], s[sgprSrdD+0], s32       // incToNextRow: gra SRD += inc(lower)
s_addc_u32  s[sgprSrdD+1], s[sgprSrdD+1], 0        // incToNextRow: gra SRD += inc(upper)
_buffer_store_b16 v42, v22, s[sgprSrdD:sgprSrdD+3], 0, offen, offset:0 // store D
v_cvt_f16_f32 v[vgprValuC+43], v[vgprValuC+43]     // convert C to fp16
s_lshl_b32  s32, s[sgprStrideD1J], 1               // incToNextRow: Scale by BPE
s_add_u32  s[sgprSrdD+0], s[sgprSrdD+0], s32       // incToNextRow: gra SRD += inc(lower)
s_addc_u32  s[sgprSrdD+1], s[sgprSrdD+1], 0        // incToNextRow: gra SRD += inc(upper)
	;; [unrolled: 5-line block ×3, first 2 shown]
_buffer_store_b16 v44, v22, s[sgprSrdD:sgprSrdD+3], 0, offen, offset:0 // store D
s_nop 0                                            // 1 wait state required when next inst writes vgprs held by previous dwordx4 store inst
s_branch label_GW_End_22                           // jump to end
label_GW_End_22:

s_endpgm                                           // Kernel End
OptNLL_End_16:


/******************************************/
/* Ord. NoLoadLoop - Begin                                      */
/******************************************/


s_waitcnt lgkmcnt(0)                               // lgkmcnt=0 vmcnt=-14wait for local write

// Skip force waitcnt0
s_barrier //


	;; [unrolled: 1-line block ×3, first 2 shown]
/* iter 0 (last unrolled loop) */

/*  grEndMfmaIndex:0, lwStartMfmaIndex:1, lwEndMfmaIndex:1  */
/*  numMfmaForLR:0, barrierMfmaIndex:0, LocalWritePerMfma:2.000 */
/*  mfmaIndex:0  */
_ds_load_u16 v[vgprValuA_X0_I0+0], v[vgprLocalReadAddrA] offset:0 // L -> Reg lro=0 swapByteOffset=0 ti=64 vIdx=0 rIdx=0 oIdx=0 buffer=0 iui=0
_ds_load_u16_d16_hi v37, v[vgprLocalReadAddrA] offset:128 // L -> Reg lro=0 swapByteOffset=0 ti=64 vIdx=0 rIdx=1 oIdx=0 buffer=0 iui=0
_ds_load_u16 v[vgprValuA_X0_I0+1], v[vgprLocalReadAddrA] offset:256 // L -> Reg lro=0 swapByteOffset=0 ti=64 vIdx=0 rIdx=2 oIdx=0 buffer=0 iui=0
_ds_load_u16_d16_hi v38, v[vgprLocalReadAddrA] offset:384 // L -> Reg lro=0 swapByteOffset=0 ti=64 vIdx=0 rIdx=3 oIdx=0 buffer=0 iui=0
_ds_load_u16 v[vgprValuB_X0_I0+0], v[vgprLocalReadAddrB] offset:0 // L -> Reg lro=0 swapByteOffset=0 ti=64 vIdx=0 rIdx=0 oIdx=0 buffer=0 iui=0
_ds_load_u16_d16_hi v39, v[vgprLocalReadAddrB] offset:128 // L -> Reg lro=0 swapByteOffset=0 ti=64 vIdx=0 rIdx=1 oIdx=0 buffer=0 iui=0
_ds_load_u16 v[vgprValuB_X0_I0+1], v[vgprLocalReadAddrB] offset:256 // L -> Reg lro=0 swapByteOffset=0 ti=64 vIdx=0 rIdx=2 oIdx=0 buffer=0 iui=0
_ds_load_u16_d16_hi v40, v[vgprLocalReadAddrB] offset:384 // L -> Reg lro=0 swapByteOffset=0 ti=64 vIdx=0 rIdx=3 oIdx=0 buffer=0 iui=0
s_waitcnt lgkmcnt(0)                               // lgkmcnt=0 vmcnt=-1wait for prior local read local write old=0, new=0 newLW=0 newLR=0
/* pack scheduling: packAIdx:2, packBIdx:2 */
v_or_b32 v[vgprValuA_X0_I0+0], v[vgprValuA_X0_I0+0], v37 // pack two half Vgpr to one Vgpr
v_or_b32 v[vgprValuA_X0_I0+1], v[vgprValuA_X0_I0+1], v38 // pack two half Vgpr to one Vgpr
v_or_b32 v[vgprValuB_X0_I0+0], v[vgprValuB_X0_I0+0], v39 // pack two half Vgpr to one Vgpr
v_or_b32 v[vgprValuB_X0_I0+1], v[vgprValuB_X0_I0+1], v40 // pack two half Vgpr to one Vgpr
s_nop  1                                           // VALU packing writes to be consumed by matrix instruction
v_mfma_f32_32x32x8bf16_1k v[0+0:15+0], v[vgprValuB_X0_I0+0+0+0:vgprValuB_X0_I0+0+0+0+1], v[vgprValuA_X0_I0+0+0+0:vgprValuA_X0_I0+0+0+0+1], v[0:15]
/* numPrefetchIter=0 */
/* dataAtIterA=0 numReadsIterA=1 skipReadsIterA=0 readsPerIterA=4 */
/* dataAtIterB=0 numReadsIterB=1 skipReadsIterB=0 readsPerIterB=4 */


/* iter 1 (last unrolled loop) */

/*  grEndMfmaIndex:0, lwStartMfmaIndex:1, lwEndMfmaIndex:1  */
/*  numMfmaForLR:0, barrierMfmaIndex:0, LocalWritePerMfma:2.000 */
/*  mfmaIndex:1  */
_ds_load_u16 v[vgprValuA_X1_I0+0], v[vgprLocalReadAddrA] offset:1024 // L -> Reg lro=512 swapByteOffset=0 ti=64 vIdx=0 rIdx=0 oIdx=0 buffer=1 iui=0
_ds_load_u16_d16_hi v37, v[vgprLocalReadAddrA] offset:1152 // L -> Reg lro=512 swapByteOffset=0 ti=64 vIdx=0 rIdx=1 oIdx=0 buffer=1 iui=0
_ds_load_u16 v[vgprValuA_X1_I0+1], v[vgprLocalReadAddrA] offset:1280 // L -> Reg lro=512 swapByteOffset=0 ti=64 vIdx=0 rIdx=2 oIdx=0 buffer=1 iui=0
_ds_load_u16_d16_hi v38, v[vgprLocalReadAddrA] offset:1408 // L -> Reg lro=512 swapByteOffset=0 ti=64 vIdx=0 rIdx=3 oIdx=0 buffer=1 iui=0
_ds_load_u16 v[vgprValuB_X1_I0+0], v[vgprLocalReadAddrB] offset:1024 // L -> Reg lro=512 swapByteOffset=0 ti=64 vIdx=0 rIdx=0 oIdx=0 buffer=1 iui=0
_ds_load_u16_d16_hi v39, v[vgprLocalReadAddrB] offset:1152 // L -> Reg lro=512 swapByteOffset=0 ti=64 vIdx=0 rIdx=1 oIdx=0 buffer=1 iui=0
_ds_load_u16 v[vgprValuB_X1_I0+1], v[vgprLocalReadAddrB] offset:1280 // L -> Reg lro=512 swapByteOffset=0 ti=64 vIdx=0 rIdx=2 oIdx=0 buffer=1 iui=0
_ds_load_u16_d16_hi v40, v[vgprLocalReadAddrB] offset:1408 // L -> Reg lro=512 swapByteOffset=0 ti=64 vIdx=0 rIdx=3 oIdx=0 buffer=1 iui=0
s_waitcnt lgkmcnt(0)                               // lgkmcnt=0 vmcnt=-1wait for prior local read local write old=0, new=0 newLW=0 newLR=0
/* pack scheduling: packAIdx:2, packBIdx:2 */
v_or_b32 v[vgprValuA_X1_I0+0], v[vgprValuA_X1_I0+0], v37 // pack two half Vgpr to one Vgpr
v_or_b32 v[vgprValuA_X1_I0+1], v[vgprValuA_X1_I0+1], v38 // pack two half Vgpr to one Vgpr
v_or_b32 v[vgprValuB_X1_I0+0], v[vgprValuB_X1_I0+0], v39 // pack two half Vgpr to one Vgpr
v_or_b32 v[vgprValuB_X1_I0+1], v[vgprValuB_X1_I0+1], v40 // pack two half Vgpr to one Vgpr
s_nop  1                                           // VALU packing writes to be consumed by matrix instruction
v_mfma_f32_32x32x8bf16_1k v[0+0:15+0], v[vgprValuB_X1_I0+0+0+0:vgprValuB_X1_I0+0+0+0+1], v[vgprValuA_X1_I0+0+0+0:vgprValuA_X1_I0+0+0+0+1], v[0:15]
/* numPrefetchIter=0 */
/* dataAtIterA=1 numReadsIterA=2 skipReadsIterA=0 readsPerIterA=4 */
/* dataAtIterB=1 numReadsIterB=2 skipReadsIterB=0 readsPerIterB=4 */

PrefetchGlobalLastIterEnd_5:


/******************************************/
/* Tail Loop                              */
/******************************************/


/* local write reset offsets a */

v_and_b32 v[vgprLocalWriteAddrA], 0xf00fff, v[vgprLocalWriteAddrA] // reset to Red


/* local write reset offsets b */

v_and_b32 v[vgprLocalWriteAddrB], 0xf00fff, v[vgprLocalWriteAddrB] // reset to Red


//numIterL = (((sizeL % LOCAL_DEPTHU) + LOCAL_SPLITU - 1) / LOCAL_SPLITU)
s_and_b32 s[sgprLoopCounterL], 15, s[sgprSizesSum+0] // s[sgprLoopCounterL] = s[sgprSizesSum+0] % 16
s_cmp_eq_u32 s[sgprLoopCounterL], 0x0              // numIterL == 0
s_cbranch_scc1 SkipTailLoopL_8                     // skip to end of tail loop b/c numIter==0
s_mov_b32 s[sgprOrigLoopCounter], 0                // repurpose to count each localRead increment


/* Update M0 for DTLDS */


	;; [unrolled: 1-line block ×3, first 2 shown]
/* global read a */

/* g2l=0, load component 0 */
_buffer_load_d16_b16 v[vgprG2LA+0+0], v[vgprGlobalReadOffsetA+0], s[sgprSrdA:sgprSrdA+3], 0, offen offset:0 // load one buffer value
/* g2l=0, load component 1 */
_buffer_load_d16_hi_b16 v37, v[vgprGlobalReadOffsetA+0], s[sgprSrdA:sgprSrdA+3], 0, offen offset:2 // load one buffer value
s_waitcnt vmcnt(0)
v_or_b32 v[vgprG2LA+0+0], v[vgprG2LA+0+0], v37 // HasEccHalf: pack
/* g2l=0, load component 2 */
_buffer_load_d16_b16 v[vgprG2LA+0+1], v[vgprGlobalReadOffsetA+0], s[sgprSrdA:sgprSrdA+3], 0, offen offset:4 // load one buffer value
/* g2l=0, load component 3 */
_buffer_load_d16_hi_b16 v37, v[vgprGlobalReadOffsetA+0], s[sgprSrdA:sgprSrdA+3], 0, offen offset:6 // load one buffer value
s_waitcnt vmcnt(0)
v_or_b32 v[vgprG2LA+0+1], v[vgprG2LA+0+1], v37 // HasEccHalf: pack


/* Update M0 for DTLDS */


	;; [unrolled: 1-line block ×3, first 2 shown]
/* global read b */

/* g2l=0, load component 0 */
_buffer_load_d16_b16 v[vgprG2LB+0+0], v[vgprGlobalReadOffsetB+0], s[sgprSrdB:sgprSrdB+3], 0, offen offset:0 // load one buffer value
/* g2l=0, load component 1 */
_buffer_load_d16_hi_b16 v37, v[vgprGlobalReadOffsetB+0], s[sgprSrdB:sgprSrdB+3], 0, offen offset:2 // load one buffer value
s_waitcnt vmcnt(0)
v_or_b32 v[vgprG2LB+0+0], v[vgprG2LB+0+0], v37 // HasEccHalf: pack
/* g2l=0, load component 2 */
_buffer_load_d16_b16 v[vgprG2LB+0+1], v[vgprGlobalReadOffsetB+0], s[sgprSrdB:sgprSrdB+3], 0, offen offset:4 // load one buffer value
/* g2l=0, load component 3 */
_buffer_load_d16_hi_b16 v37, v[vgprGlobalReadOffsetB+0], s[sgprSrdB:sgprSrdB+3], 0, offen offset:6 // load one buffer value
s_waitcnt vmcnt(0)
v_or_b32 v[vgprG2LB+0+1], v[vgprG2LB+0+1], v37 // HasEccHalf: pack

s_waitcnt vmcnt(0)                                 // lgkmcnt=-1 vmcnt=02wait for global read

// Skip force waitcnt0
s_barrier //


/* Done global A/B reads */


	;; [unrolled: 1-line block ×4, first 2 shown]
/* local write a */

v_cvt_f32_f16 v[vgprG2Lpipe0], v[vgprG2LA+0]       // 
v_cvt_f32_f16 v[vgprG2Lpipe1], v[vgprG2LA+0], src0_sel:WORD_1 // 
v_pack_b32_f16 v[vgprG2LA+0], v[vgprG2Lpipe0], v[vgprG2Lpipe1], op_sel:[1,1,0] // 
v_cvt_f32_f16 v[vgprG2Lpipe0], v[vgprG2LA+1]       // 
v_cvt_f32_f16 v[vgprG2Lpipe1], v[vgprG2LA+1], src0_sel:WORD_1 // 
v_pack_b32_f16 v[vgprG2LA+1], v[vgprG2Lpipe0], v[vgprG2Lpipe1], op_sel:[1,1,0] // 
_ds_store_b64 v[vgprLocalWriteAddrA], v[vgprG2LA+0:vgprG2LA+0+1] offset:0 // lwoA_0_0_0_0 = (0*LSCA) + (0*LSPA)(*MT0I+PAD) = 0


/* local write b */

v_cvt_f32_f16 v[vgprG2Lpipe0], v[vgprG2LB+0]       // 
v_cvt_f32_f16 v[vgprG2Lpipe1], v[vgprG2LB+0], src0_sel:WORD_1 // 
v_pack_b32_f16 v[vgprG2LB+0], v[vgprG2Lpipe0], v[vgprG2Lpipe1], op_sel:[1,1,0] // 
v_cvt_f32_f16 v[vgprG2Lpipe0], v[vgprG2LB+1]       // 
v_cvt_f32_f16 v[vgprG2Lpipe1], v[vgprG2LB+1], src0_sel:WORD_1 // 
v_pack_b32_f16 v[vgprG2LB+1], v[vgprG2Lpipe0], v[vgprG2Lpipe1], op_sel:[1,1,0] // 
_ds_store_b64 v[vgprLocalWriteAddrB], v[vgprG2LB+0:vgprG2LB+0+1] offset:0 // lwoB_0_0_0_0 = (0*LSCB) + (0*LSPB)(*MT1J+PAD) = 0


/* Recalc local read offsets */


s_waitcnt lgkmcnt(0)                               // lgkmcnt=0 vmcnt=-15wait for local write

// Skip force waitcnt0
s_barrier //


/* local read reset offsets a */


/* localReadResetOffsets */
/* handled internally */
v_and_b32 v[vgprLocalReadAddrA], 0xfff, v[vgprLocalReadAddrA] // reset Red,Blk -> Red


/* local read reset offsets b */


/* localReadResetOffsets */
/* handled internally */
v_and_b32 v[vgprLocalReadAddrB], 0xfff, v[vgprLocalReadAddrB] // reset Red,Blk -> Red


/* local read init pointers a */


/* localReadInitPointers */


/* local read init pointers b */


/* localReadInitPointers */


/* tail loop: macs */

TailLoopBeginL_6:


/* local read a */

_ds_load_u16 v[vgprValuA_X0_I0+0], v[vgprLocalReadAddrA] offset:0 // L -> Reg lro=0 swapByteOffset=0 ti=64 vIdx=0 rIdx=0 oIdx=0 buffer=0 iui=0
_ds_load_u16_d16_hi v37, v[vgprLocalReadAddrA] offset:128 // L -> Reg lro=0 swapByteOffset=0 ti=64 vIdx=0 rIdx=1 oIdx=0 buffer=0 iui=0
_ds_load_u16 v[vgprValuA_X0_I0+1], v[vgprLocalReadAddrA] offset:256 // L -> Reg lro=0 swapByteOffset=0 ti=64 vIdx=0 rIdx=2 oIdx=0 buffer=0 iui=0
_ds_load_u16_d16_hi v38, v[vgprLocalReadAddrA] offset:384 // L -> Reg lro=0 swapByteOffset=0 ti=64 vIdx=0 rIdx=3 oIdx=0 buffer=0 iui=0


/* local read b */

_ds_load_u16 v[vgprValuB_X0_I0+0], v[vgprLocalReadAddrB] offset:0 // L -> Reg lro=0 swapByteOffset=0 ti=64 vIdx=0 rIdx=0 oIdx=0 buffer=0 iui=0
_ds_load_u16_d16_hi v39, v[vgprLocalReadAddrB] offset:128 // L -> Reg lro=0 swapByteOffset=0 ti=64 vIdx=0 rIdx=1 oIdx=0 buffer=0 iui=0
_ds_load_u16 v[vgprValuB_X0_I0+1], v[vgprLocalReadAddrB] offset:256 // L -> Reg lro=0 swapByteOffset=0 ti=64 vIdx=0 rIdx=2 oIdx=0 buffer=0 iui=0
_ds_load_u16_d16_hi v40, v[vgprLocalReadAddrB] offset:384 // L -> Reg lro=0 swapByteOffset=0 ti=64 vIdx=0 rIdx=3 oIdx=0 buffer=0 iui=0


/* local read inc a */

s_mov_b32 s31, 0x400                               // inc
_v_add_co_u32 v[vgprLocalReadAddrA], vcc, s31, v[vgprLocalReadAddrA] // lrA += 1024 (LSU*(MT+PAD)*bpe)


/* local read inc b */

s_mov_b32 s31, 0x400                               // inc
_v_add_co_u32 v[vgprLocalReadAddrB], vcc, s31, v[vgprLocalReadAddrB] // lrB += 1024 (LSU*(MT+PAD)*bpe)

s_waitcnt lgkmcnt(0)                               // lgkmcnt=0 vmcnt=-14wait for local read

v_or_b32 v[vgprValuA_X0_I0+0], v[vgprValuA_X0_I0+0], v37 // pack two half Vgpr to one Vgpr
v_or_b32 v[vgprValuA_X0_I0+1], v[vgprValuA_X0_I0+1], v38 // pack two half Vgpr to one Vgpr
v_or_b32 v[vgprValuB_X0_I0+0], v[vgprValuB_X0_I0+0], v39 // pack two half Vgpr to one Vgpr
v_or_b32 v[vgprValuB_X0_I0+1], v[vgprValuB_X0_I0+1], v40 // pack two half Vgpr to one Vgpr

s_nop 1
v_mfma_f32_32x32x8bf16_1k v[0+0:15+0], v[vgprValuB_X0_I0+0+0+0:vgprValuB_X0_I0+0+0+0+1], v[vgprValuA_X0_I0+0+0+0:vgprValuA_X0_I0+0+0+0+1], v[0:15]


/* closeLoop loopL finalLoop=1 tailLoop=1 */
s_sub_i32 s[sgprLoopCounterL], s[sgprLoopCounterL], 0x8 // dec counterL (tailLoop)
s_add_u32 s[sgprOrigLoopCounter], s[sgprOrigLoopCounter], 0x8 // inc counterL
s_cmp_le_i32 s[sgprLoopCounterL], 0x0              // counterL<=0
s_cbranch_scc0 TailLoopBeginL_6                    // restart LoopL
TailLoopEndL_7:

SkipTailLoopL_8:

Summation_End_29:
/* endSummation: add vgpr [16...32) to pool */
.set NumFullBlocks, UNDEF
.set WgmRemainder1, UNDEF
.set MagicNumberWgmRemainder1, UNDEF

/* Mapping of Acc register -> C Vgpr register */

/* Multiply MI out register with Alpha -> C Vgpr register */


/* shift vector components d0 */

v_mov_b32 v17, s[sgprWorkGroup0]                   // 
v_mul_i32_i24 v17, -0x40, v17                      // wg*MT
_v_add_co_u32 v17, vcc, s[sgprSizesFree+0], v17    // wgMT = Size - wg*MT
v_mov_b32 v18, 0x40                                // MT
v_min_u32 v17, v18, v17                            // wgMT = (wgMT < MT) ? wgMT : MT
v_lshrrev_b32 v16, 6, v[vgprSerial]                // v16 = v[vgprSerial] / 64
v_and_b32 v19, 1, v16                              // v19 = v16 % 2
v_lshrrev_b32 v16, 5, v17                          // v16 = v17 / 32
v_and_b32 v20, 1, v16                              // v20 = v16 % 2
v_cmp_eq_u32 s[32:33], v20, v19                    // wave_id == block_belong_to_wave?
v_cndmask_b32 v17, v18, v17, s[32:33]              // wgMT = (wgMT < MT) ? wgMT : MT

/* mbReg: which mb block need to shift, mb(matrixInstCoal(32) * VectorWidth(1)) */
v_lshrrev_b32 v18, 5, v17                          // v18 = v17 / 32
v_lshlrev_b32 v20, 0x0, v19                        // v20 = v19 * 1
_v_sub_u32 v18, v18, v20                           // 

/* gbReg: glvw block id */
v_lshrrev_b32 v20, 2, v17                          // v20 = v17 / 4

/* tgbReg: glvw block id */
v_lshrrev_b32 v16, 0, v[vgprSerial]                // v16 = v[vgprSerial] / 1
v_and_b32 v21, 31, v16                             // v21 = v16 % 32
                                                   // v21 = v21 * 1 (multiplier is 1, do nothing)
v_lshrrev_b32 v21, 2, v21                          // v21 = v21 / 4
v_lshlrev_b32 v19, 0x3, v19                        // v19 = v19 * 8
_v_add_co_u32 v21, vcc, v19, v21                   // tgbReg = (tid_coal * continOut) / GLVW
_v_sub_u32 v20, v20, v21                           // 

/* vwReg: glvw in which vw block? */
v_and_b32 v19, 0, v17                              // permute register between threads
v_lshrrev_b32 v19, 2, v19                          // permute register between threads

/* rReg : reminder of M_size % GlobalLoadVectorWidth */
v_and_b32 v21, 3, v17                              // v21 = v17 % 4
v_cmp_eq_u32 vcc, v21, 0x1                         // wgMT%VW == 1
s_cbranch_vccnz label_0030                         // branch to shift d0 r=1
v_cmp_eq_u32 vcc, v21, 0x2                         // wgMT%VW == 2
s_cbranch_vccnz label_0033                         // branch to shift d0 r=2
v_cmp_eq_u32 vcc, v21, 0x3                         // wgMT%VW == 3
s_cbranch_vccnz label_0036                         // branch to shift d0 r=3
s_branch label_0039                                // no shifting

/******************************************/
/* shift d0 r=1                           */
/******************************************/
label_0030:
v_cmp_eq_u32 vcc, v18, 0x0                         // 
s_cbranch_vccnz label_0031                         // branch to shift d0 r1 mb0

/******************************************/
/* shift d0 r=2                           */
/******************************************/
label_0033:
v_cmp_eq_u32 vcc, v18, 0x0                         // 
s_cbranch_vccnz label_0034                         // branch to shift d0 r2 mb0

/******************************************/
/* shift d0 r=3                           */
/******************************************/
label_0036:
v_cmp_eq_u32 vcc, v18, 0x0                         // 
s_cbranch_vccnz label_0037                         // branch to shift d0 r3 mb0

/******************************************/
/* shift d0 r=1 mb=0                      */
/******************************************/
label_0031: // r1 mb0 
v_cmp_eq_u32 vcc, v19, 0x0                         // 
s_cbranch_vccnz label_0032                         // branch to shift d0 r1 mb0 vw0

/******************************************/
/* shift d0 r=2 mb=0                      */
/******************************************/
label_0034: // r2 mb0 
v_cmp_eq_u32 vcc, v19, 0x0                         // 
s_cbranch_vccnz label_0035                         // branch to shift d0 r2 mb0 vw0

/******************************************/
/* shift d0 r=3 mb=0                      */
/******************************************/
label_0037: // r3 mb0 
v_cmp_eq_u32 vcc, v19, 0x0                         // 
s_cbranch_vccnz label_0038                         // branch to shift d0 r3 mb0 vw0

/******************************************/
/* shift d0 r=1 mb=0 vw0                  */
/******************************************/
label_0032: // r1 mb0 vw0 
s_mov_b32 s32, 0                                   // 
_v_cmpx_eq_u32 s[32:33], v20, s32                  // is thread in edge glvw region
v_and_b32 v16, 63, v[vgprSerial]                   // permute register between threads
v_lshlrev_b32 v16, 2, v16                          // permute register between threads
ds_bpermute_b32 v0, v16, v0, offset:12             // permute edge values
s_waitcnt 0                                        // wait for swizzle operation
ds_bpermute_b32 v1, v16, v1, offset:12             // permute edge values
s_waitcnt 0                                        // wait for swizzle operation
ds_bpermute_b32 v2, v16, v2, offset:12             // permute edge values
s_waitcnt 0                                        // wait for swizzle operation
ds_bpermute_b32 v3, v16, v3, offset:12             // permute edge values
s_waitcnt 0                                        // wait for swizzle operation
ds_bpermute_b32 v4, v16, v4, offset:12             // permute edge values
s_waitcnt 0                                        // wait for swizzle operation
ds_bpermute_b32 v5, v16, v5, offset:12             // permute edge values
s_waitcnt 0                                        // wait for swizzle operation
ds_bpermute_b32 v6, v16, v6, offset:12             // permute edge values
s_waitcnt 0                                        // wait for swizzle operation
ds_bpermute_b32 v7, v16, v7, offset:12             // permute edge values
s_waitcnt 0                                        // wait for swizzle operation
ds_bpermute_b32 v8, v16, v8, offset:12             // permute edge values
s_waitcnt 0                                        // wait for swizzle operation
ds_bpermute_b32 v9, v16, v9, offset:12             // permute edge values
s_waitcnt 0                                        // wait for swizzle operation
ds_bpermute_b32 v10, v16, v10, offset:12           // permute edge values
s_waitcnt 0                                        // wait for swizzle operation
ds_bpermute_b32 v11, v16, v11, offset:12           // permute edge values
s_waitcnt 0                                        // wait for swizzle operation
	;; [unrolled: 2-line block ×6, first 2 shown]
s_mov_b64 s[32:33], 0xFFFFFFFFFFFFFFFF             // to restore all threads active
s_or_saveexec_b64 vcc, s[32:33]                    // all threads active
s_branch label_0039                                // done shifting


/******************************************/
/* shift d0 r=2 mb=0 vw0                  */
/******************************************/
label_0035: // r2 mb0 vw0 
s_mov_b32 s32, 0                                   // 
_v_cmpx_eq_u32 s[32:33], v20, s32                  // is thread in edge glvw region
v_and_b32 v16, 63, v[vgprSerial]                   // permute register between threads
v_lshlrev_b32 v16, 2, v16                          // permute register between threads
ds_bpermute_b32 v0, v16, v0, offset:8              // permute edge values
s_waitcnt 0                                        // wait for swizzle operation
ds_bpermute_b32 v1, v16, v1, offset:8              // permute edge values
s_waitcnt 0                                        // wait for swizzle operation
	;; [unrolled: 2-line block ×10, first 2 shown]
ds_bpermute_b32 v10, v16, v10, offset:8            // permute edge values
s_waitcnt 0                                        // wait for swizzle operation
ds_bpermute_b32 v11, v16, v11, offset:8            // permute edge values
s_waitcnt 0                                        // wait for swizzle operation
	;; [unrolled: 2-line block ×6, first 2 shown]
s_mov_b64 s[32:33], 0xFFFFFFFFFFFFFFFF             // to restore all threads active
s_or_saveexec_b64 vcc, s[32:33]                    // all threads active
s_branch label_0039                                // done shifting


/******************************************/
/* shift d0 r=3 mb=0 vw0                  */
/******************************************/
label_0038: // r3 mb0 vw0 
s_mov_b32 s32, 0                                   // 
_v_cmpx_eq_u32 s[32:33], v20, s32                  // is thread in edge glvw region
v_and_b32 v16, 63, v[vgprSerial]                   // permute register between threads
v_lshlrev_b32 v16, 2, v16                          // permute register between threads
ds_bpermute_b32 v0, v16, v0, offset:4              // permute edge values
s_waitcnt 0                                        // wait for swizzle operation
ds_bpermute_b32 v1, v16, v1, offset:4              // permute edge values
s_waitcnt 0                                        // wait for swizzle operation
	;; [unrolled: 2-line block ×10, first 2 shown]
ds_bpermute_b32 v10, v16, v10, offset:4            // permute edge values
s_waitcnt 0                                        // wait for swizzle operation
ds_bpermute_b32 v11, v16, v11, offset:4            // permute edge values
s_waitcnt 0                                        // wait for swizzle operation
ds_bpermute_b32 v12, v16, v12, offset:4            // permute edge values
s_waitcnt 0                                        // wait for swizzle operation
ds_bpermute_b32 v13, v16, v13, offset:4            // permute edge values
s_waitcnt 0                                        // wait for swizzle operation
ds_bpermute_b32 v14, v16, v14, offset:4            // permute edge values
s_waitcnt 0                                        // wait for swizzle operation
ds_bpermute_b32 v15, v16, v15, offset:4            // permute edge values
s_waitcnt 0                                        // wait for swizzle operation
s_mov_b64 s[32:33], 0xFFFFFFFFFFFFFFFF             // to restore all threads active
s_or_saveexec_b64 vcc, s[32:33]                    // all threads active
s_branch label_0039                                // done shifting

label_0039: // end shift0


/* shift vector components d1 */

v_mov_b32 v17, s[sgprWorkGroup1]                   // 
v_mul_i32_i24 v17, -0x40, v17                      // wg*MT
_v_add_co_u32 v17, vcc, s[sgprSizesFree+1], v17    // wgMT = Size - wg*MT
v_mov_b32 v18, 0x40                                // MT
v_min_u32 v17, v18, v17                            // wgMT = (wgMT < MT) ? wgMT : MT
v_lshrrev_b32 v16, 7, v[vgprSerial]                // v16 = v[vgprSerial] / 128
v_and_b32 v19, 1, v16                              // v19 = v16 % 2
v_lshrrev_b32 v16, 5, v17                          // v16 = v17 / 32
v_and_b32 v20, 1, v16                              // v20 = v16 % 2
v_cmp_eq_u32 s[32:33], v20, v19                    // wave_id == block_belong_to_wave?
v_cndmask_b32 v17, v18, v17, s[32:33]              // wgMT = (wgMT < MT) ? wgMT : MT

/* mbReg: which mb block need to shift, mb(matrixInstCoal(32) * VectorWidth(1)) */
v_lshrrev_b32 v18, 3, v17                          // v18 = v17 / 8
v_lshlrev_b32 v20, 0x2, v19                        // v20 = v19 * 4
_v_sub_u32 v18, v18, v20                           // 

/* gbReg: glvw block id */
v_lshrrev_b32 v20, 2, v17                          // v20 = v17 / 4

/* tgbReg: glvw block id */
v_lshrrev_b32 v16, 5, v[vgprSerial]                // v16 = v[vgprSerial] / 32
v_and_b32 v21, 1, v16                              // v21 = v16 % 2
v_lshlrev_b32 v21, 0x2, v21                        // v21 = v21 * 4
v_lshrrev_b32 v21, 2, v21                          // v21 = v21 / 4
v_lshlrev_b32 v19, 0x3, v19                        // v19 = v19 * 8
_v_add_co_u32 v21, vcc, v19, v21                   // tgbReg = (tid_coal * continOut) / GLVW
_v_sub_u32 v20, v20, v21                           // 

/* vwReg: glvw in which vw block? */
v_and_b32 v19, 3, v17                              // permute register between threads
v_lshrrev_b32 v19, 2, v19                          // permute register between threads

/* rReg : reminder of M_size % GlobalLoadVectorWidth */
v_and_b32 v21, 3, v17                              // v21 = v17 % 4
v_cmp_eq_u32 vcc, v21, 0x1                         // wgMT%VW == 1
s_cbranch_vccnz label_0042                         // branch to shift d1 r=1
v_cmp_eq_u32 vcc, v21, 0x2                         // wgMT%VW == 2
s_cbranch_vccnz label_0051                         // branch to shift d1 r=2
v_cmp_eq_u32 vcc, v21, 0x3                         // wgMT%VW == 3
s_cbranch_vccnz label_0060                         // branch to shift d1 r=3
s_branch label_0069                                // no shifting

/******************************************/
/* shift d1 r=1                           */
/******************************************/
label_0042:
v_cmp_eq_u32 vcc, v18, 0x0                         // 
s_cbranch_vccnz label_0043                         // branch to shift d1 r1 mb0
v_cmp_eq_u32 vcc, v18, 0x1                         // 
s_cbranch_vccnz label_0045                         // branch to shift d1 r1 mb1
v_cmp_eq_u32 vcc, v18, 0x2                         // 
s_cbranch_vccnz label_0047                         // branch to shift d1 r1 mb2
v_cmp_eq_u32 vcc, v18, 0x3                         // 
s_cbranch_vccnz label_0049                         // branch to shift d1 r1 mb3

/******************************************/
/* shift d1 r=2                           */
/******************************************/
label_0051:
v_cmp_eq_u32 vcc, v18, 0x0                         // 
s_cbranch_vccnz label_0052                         // branch to shift d1 r2 mb0
v_cmp_eq_u32 vcc, v18, 0x1                         // 
s_cbranch_vccnz label_0054                         // branch to shift d1 r2 mb1
v_cmp_eq_u32 vcc, v18, 0x2                         // 
s_cbranch_vccnz label_0056                         // branch to shift d1 r2 mb2
v_cmp_eq_u32 vcc, v18, 0x3                         // 
s_cbranch_vccnz label_0058                         // branch to shift d1 r2 mb3

/******************************************/
/* shift d1 r=3                           */
/******************************************/
label_0060:
v_cmp_eq_u32 vcc, v18, 0x0                         // 
s_cbranch_vccnz label_0061                         // branch to shift d1 r3 mb0
v_cmp_eq_u32 vcc, v18, 0x1                         // 
s_cbranch_vccnz label_0063                         // branch to shift d1 r3 mb1
v_cmp_eq_u32 vcc, v18, 0x2                         // 
s_cbranch_vccnz label_0065                         // branch to shift d1 r3 mb2
v_cmp_eq_u32 vcc, v18, 0x3                         // 
s_cbranch_vccnz label_0067                         // branch to shift d1 r3 mb3

/******************************************/
/* shift d1 r=1 mb=0                      */
/******************************************/
label_0043: // r1 mb0 
v_cmp_eq_u32 vcc, v19, 0x0                         // 
s_cbranch_vccnz label_0044                         // branch to shift d1 r1 mb0 vw0

/******************************************/
/* shift d1 r=1 mb=1                      */
/******************************************/
label_0045: // r1 mb1 
v_cmp_eq_u32 vcc, v19, 0x0                         // 
s_cbranch_vccnz label_0046                         // branch to shift d1 r1 mb1 vw0

/******************************************/
/* shift d1 r=1 mb=2                      */
/******************************************/
label_0047: // r1 mb2 
v_cmp_eq_u32 vcc, v19, 0x0                         // 
s_cbranch_vccnz label_0048                         // branch to shift d1 r1 mb2 vw0

/******************************************/
/* shift d1 r=1 mb=3                      */
/******************************************/
label_0049: // r1 mb3 
v_cmp_eq_u32 vcc, v19, 0x0                         // 
s_cbranch_vccnz label_0050                         // branch to shift d1 r1 mb3 vw0

/******************************************/
/* shift d1 r=2 mb=0                      */
/******************************************/
label_0052: // r2 mb0 
v_cmp_eq_u32 vcc, v19, 0x0                         // 
s_cbranch_vccnz label_0053                         // branch to shift d1 r2 mb0 vw0

/******************************************/
/* shift d1 r=2 mb=1                      */
/******************************************/
label_0054: // r2 mb1 
v_cmp_eq_u32 vcc, v19, 0x0                         // 
s_cbranch_vccnz label_0055                         // branch to shift d1 r2 mb1 vw0

/******************************************/
/* shift d1 r=2 mb=2                      */
/******************************************/
label_0056: // r2 mb2 
v_cmp_eq_u32 vcc, v19, 0x0                         // 
s_cbranch_vccnz label_0057                         // branch to shift d1 r2 mb2 vw0

/******************************************/
/* shift d1 r=2 mb=3                      */
/******************************************/
label_0058: // r2 mb3 
v_cmp_eq_u32 vcc, v19, 0x0                         // 
s_cbranch_vccnz label_0059                         // branch to shift d1 r2 mb3 vw0

/******************************************/
/* shift d1 r=3 mb=0                      */
/******************************************/
label_0061: // r3 mb0 
v_cmp_eq_u32 vcc, v19, 0x0                         // 
s_cbranch_vccnz label_0062                         // branch to shift d1 r3 mb0 vw0

/******************************************/
/* shift d1 r=3 mb=1                      */
/******************************************/
label_0063: // r3 mb1 
v_cmp_eq_u32 vcc, v19, 0x0                         // 
s_cbranch_vccnz label_0064                         // branch to shift d1 r3 mb1 vw0

/******************************************/
/* shift d1 r=3 mb=2                      */
/******************************************/
label_0065: // r3 mb2 
v_cmp_eq_u32 vcc, v19, 0x0                         // 
s_cbranch_vccnz label_0066                         // branch to shift d1 r3 mb2 vw0

/******************************************/
/* shift d1 r=3 mb=3                      */
/******************************************/
label_0067: // r3 mb3 
v_cmp_eq_u32 vcc, v19, 0x0                         // 
s_cbranch_vccnz label_0068                         // branch to shift d1 r3 mb3 vw0

/******************************************/
/* shift d1 r=1 mb=0 vw0                  */
/******************************************/
label_0044: // r1 mb0 vw0 
s_mov_b32 s32, 0                                   // 
_v_cmpx_eq_u32 s[32:33], v20, s32                  // is thread in edge glvw region
v_and_b32 v16, 63, v[vgprSerial]                   // permute register between threads
v_lshlrev_b32 v16, 2, v16                          // permute register between threads
v_mov_b32 v21, v3                                  // glvw 1 mb 0 tt1 0 r 0
v_mov_b32 v0, v21                                  // 
s_mov_b64 s[32:33], 0xFFFFFFFFFFFFFFFF             // to restore all threads active
s_or_saveexec_b64 vcc, s[32:33]                    // all threads active
s_branch label_0069                                // done shifting


/******************************************/
/* shift d1 r=1 mb=1 vw0                  */
/******************************************/
label_0046: // r1 mb1 vw0 
s_mov_b32 s32, 2                                   // 
_v_cmpx_eq_u32 s[32:33], v20, s32                  // is thread in edge glvw region
v_and_b32 v16, 63, v[vgprSerial]                   // permute register between threads
v_lshlrev_b32 v16, 2, v16                          // permute register between threads
v_mov_b32 v21, v7                                  // glvw 1 mb 1 tt1 0 r 0
v_mov_b32 v4, v21                                  // 
s_mov_b64 s[32:33], 0xFFFFFFFFFFFFFFFF             // to restore all threads active
s_or_saveexec_b64 vcc, s[32:33]                    // all threads active
s_branch label_0069                                // done shifting


/******************************************/
/* shift d1 r=1 mb=2 vw0                  */
/******************************************/
label_0048: // r1 mb2 vw0 
s_mov_b32 s32, 4                                   // 
_v_cmpx_eq_u32 s[32:33], v20, s32                  // is thread in edge glvw region
v_and_b32 v16, 63, v[vgprSerial]                   // permute register between threads
v_lshlrev_b32 v16, 2, v16                          // permute register between threads
v_mov_b32 v21, v11                                 // glvw 1 mb 2 tt1 0 r 0
v_mov_b32 v8, v21                                  // 
s_mov_b64 s[32:33], 0xFFFFFFFFFFFFFFFF             // to restore all threads active
s_or_saveexec_b64 vcc, s[32:33]                    // all threads active
s_branch label_0069                                // done shifting


/******************************************/
/* shift d1 r=1 mb=3 vw0                  */
/******************************************/
label_0050: // r1 mb3 vw0 
s_mov_b32 s32, 6                                   // 
_v_cmpx_eq_u32 s[32:33], v20, s32                  // is thread in edge glvw region
v_and_b32 v16, 63, v[vgprSerial]                   // permute register between threads
v_lshlrev_b32 v16, 2, v16                          // permute register between threads
v_mov_b32 v21, v15                                 // glvw 1 mb 3 tt1 0 r 0
v_mov_b32 v12, v21                                 // 
s_mov_b64 s[32:33], 0xFFFFFFFFFFFFFFFF             // to restore all threads active
s_or_saveexec_b64 vcc, s[32:33]                    // all threads active
s_branch label_0069                                // done shifting


/******************************************/
/* shift d1 r=2 mb=0 vw0                  */
/******************************************/
label_0053: // r2 mb0 vw0 
s_mov_b32 s32, 0                                   // 
_v_cmpx_eq_u32 s[32:33], v20, s32                  // is thread in edge glvw region
v_and_b32 v16, 63, v[vgprSerial]                   // permute register between threads
v_lshlrev_b32 v16, 2, v16                          // permute register between threads
v_mov_b32 v21, v2                                  // glvw 2 mb 0 tt1 0 r 0
v_mov_b32 v22, v3                                  // glvw 2 mb 0 tt1 0 r 0
v_mov_b32 v0, v21                                  // 
v_mov_b32 v1, v22                                  // 
s_mov_b64 s[32:33], 0xFFFFFFFFFFFFFFFF             // to restore all threads active
s_or_saveexec_b64 vcc, s[32:33]                    // all threads active
s_branch label_0069                                // done shifting


/******************************************/
/* shift d1 r=2 mb=1 vw0                  */
/******************************************/
label_0055: // r2 mb1 vw0 
s_mov_b32 s32, 2                                   // 
_v_cmpx_eq_u32 s[32:33], v20, s32                  // is thread in edge glvw region
v_and_b32 v16, 63, v[vgprSerial]                   // permute register between threads
v_lshlrev_b32 v16, 2, v16                          // permute register between threads
v_mov_b32 v21, v6                                  // glvw 2 mb 1 tt1 0 r 0
v_mov_b32 v22, v7                                  // glvw 2 mb 1 tt1 0 r 0
v_mov_b32 v4, v21                                  // 
v_mov_b32 v5, v22                                  // 
s_mov_b64 s[32:33], 0xFFFFFFFFFFFFFFFF             // to restore all threads active
s_or_saveexec_b64 vcc, s[32:33]                    // all threads active
s_branch label_0069                                // done shifting


/******************************************/
/* shift d1 r=2 mb=2 vw0                  */
/******************************************/
label_0057: // r2 mb2 vw0 
s_mov_b32 s32, 4                                   // 
_v_cmpx_eq_u32 s[32:33], v20, s32                  // is thread in edge glvw region
v_and_b32 v16, 63, v[vgprSerial]                   // permute register between threads
v_lshlrev_b32 v16, 2, v16                          // permute register between threads
v_mov_b32 v21, v10                                 // glvw 2 mb 2 tt1 0 r 0
v_mov_b32 v22, v11                                 // glvw 2 mb 2 tt1 0 r 0
v_mov_b32 v8, v21                                  // 
v_mov_b32 v9, v22                                  // 
s_mov_b64 s[32:33], 0xFFFFFFFFFFFFFFFF             // to restore all threads active
s_or_saveexec_b64 vcc, s[32:33]                    // all threads active
s_branch label_0069                                // done shifting


/******************************************/
/* shift d1 r=2 mb=3 vw0                  */
/******************************************/
label_0059: // r2 mb3 vw0 
s_mov_b32 s32, 6                                   // 
_v_cmpx_eq_u32 s[32:33], v20, s32                  // is thread in edge glvw region
v_and_b32 v16, 63, v[vgprSerial]                   // permute register between threads
v_lshlrev_b32 v16, 2, v16                          // permute register between threads
v_mov_b32 v21, v14                                 // glvw 2 mb 3 tt1 0 r 0
v_mov_b32 v22, v15                                 // glvw 2 mb 3 tt1 0 r 0
v_mov_b32 v12, v21                                 // 
v_mov_b32 v13, v22                                 // 
s_mov_b64 s[32:33], 0xFFFFFFFFFFFFFFFF             // to restore all threads active
s_or_saveexec_b64 vcc, s[32:33]                    // all threads active
s_branch label_0069                                // done shifting


/******************************************/
/* shift d1 r=3 mb=0 vw0                  */
/******************************************/
label_0062: // r3 mb0 vw0 
s_mov_b32 s32, 0                                   // 
_v_cmpx_eq_u32 s[32:33], v20, s32                  // is thread in edge glvw region
v_and_b32 v16, 63, v[vgprSerial]                   // permute register between threads
v_lshlrev_b32 v16, 2, v16                          // permute register between threads
v_mov_b32 v21, v1                                  // glvw 3 mb 0 tt1 0 r 0
v_mov_b32 v22, v2                                  // glvw 3 mb 0 tt1 0 r 0
v_mov_b32 v23, v3                                  // glvw 3 mb 0 tt1 0 r 0
v_mov_b32 v0, v21                                  // 
v_mov_b32 v1, v22                                  // 
	;; [unrolled: 1-line block ×3, first 2 shown]
s_mov_b64 s[32:33], 0xFFFFFFFFFFFFFFFF             // to restore all threads active
s_or_saveexec_b64 vcc, s[32:33]                    // all threads active
s_branch label_0069                                // done shifting


/******************************************/
/* shift d1 r=3 mb=1 vw0                  */
/******************************************/
label_0064: // r3 mb1 vw0 
s_mov_b32 s32, 2                                   // 
_v_cmpx_eq_u32 s[32:33], v20, s32                  // is thread in edge glvw region
v_and_b32 v16, 63, v[vgprSerial]                   // permute register between threads
v_lshlrev_b32 v16, 2, v16                          // permute register between threads
v_mov_b32 v21, v5                                  // glvw 3 mb 1 tt1 0 r 0
v_mov_b32 v22, v6                                  // glvw 3 mb 1 tt1 0 r 0
	;; [unrolled: 1-line block ×3, first 2 shown]
v_mov_b32 v4, v21                                  // 
v_mov_b32 v5, v22                                  // 
	;; [unrolled: 1-line block ×3, first 2 shown]
s_mov_b64 s[32:33], 0xFFFFFFFFFFFFFFFF             // to restore all threads active
s_or_saveexec_b64 vcc, s[32:33]                    // all threads active
s_branch label_0069                                // done shifting


/******************************************/
/* shift d1 r=3 mb=2 vw0                  */
/******************************************/
label_0066: // r3 mb2 vw0 
s_mov_b32 s32, 4                                   // 
_v_cmpx_eq_u32 s[32:33], v20, s32                  // is thread in edge glvw region
v_and_b32 v16, 63, v[vgprSerial]                   // permute register between threads
v_lshlrev_b32 v16, 2, v16                          // permute register between threads
v_mov_b32 v21, v9                                  // glvw 3 mb 2 tt1 0 r 0
v_mov_b32 v22, v10                                 // glvw 3 mb 2 tt1 0 r 0
v_mov_b32 v23, v11                                 // glvw 3 mb 2 tt1 0 r 0
v_mov_b32 v8, v21                                  // 
v_mov_b32 v9, v22                                  // 
v_mov_b32 v10, v23                                 // 
s_mov_b64 s[32:33], 0xFFFFFFFFFFFFFFFF             // to restore all threads active
s_or_saveexec_b64 vcc, s[32:33]                    // all threads active
s_branch label_0069                                // done shifting


/******************************************/
/* shift d1 r=3 mb=3 vw0                  */
/******************************************/
label_0068: // r3 mb3 vw0 
s_mov_b32 s32, 6                                   // 
_v_cmpx_eq_u32 s[32:33], v20, s32                  // is thread in edge glvw region
v_and_b32 v16, 63, v[vgprSerial]                   // permute register between threads
v_lshlrev_b32 v16, 2, v16                          // permute register between threads
v_mov_b32 v21, v13                                 // glvw 3 mb 3 tt1 0 r 0
v_mov_b32 v22, v14                                 // glvw 3 mb 3 tt1 0 r 0
	;; [unrolled: 1-line block ×3, first 2 shown]
v_mov_b32 v12, v21                                 // 
v_mov_b32 v13, v22                                 // 
v_mov_b32 v14, v23                                 // 
s_mov_b64 s[32:33], 0xFFFFFFFFFFFFFFFF             // to restore all threads active
s_or_saveexec_b64 vcc, s[32:33]                    // all threads active
s_branch label_0069                                // done shifting

label_0069: // end shift0


	;; [unrolled: 1-line block ×3, first 2 shown]
/* not-LocalSplitU: global write indices */

/* computeStoreVgprs */
v_lshrrev_b32 v20, 6, v[vgprSerial]                // v20 = v[vgprSerial] / 64
v_and_b32 v17, 63, v[vgprSerial]                   // v17 = v[vgprSerial] % 64
v_lshrrev_b32 v17, 5, v17                          // v17 = v17 / 32
v_lshlrev_b32 v17, 0x2, v17                        // thread0 * continuous_output
v_lshrrev_b32 v21, 1, v20                          // v21 = v20 / 2
v_mul_lo_u32 v21, 0x20, v21                        // wave coordination offset 1
_v_add_lshl_u32 v17, v21, v17, 0                   // coordination 1 = vwb *(wave_id1 + tid1)
v_mul_lo_u32 v18, v17, s[sgprStrideC1J]            //  offset 1
v_mul_lo_u32 v19, v17, s[sgprStrideD1J]            //  offset 1
v_and_b32 v21, 1, v20                              // v21 = v20 % 2
v_mul_lo_u32 v21, 0x20, v21                        // wave coordination offset 0
v_and_b32 v16, 31, v[vgprSerial]                   // v16 = v[vgprSerial] % 32
_v_add_lshl_u32 v16, v21, v16, 0                   // coordination 0 = vwa *(wave_id0 + tid0)
s_mul_i32 s31, 64, s[sgprWorkGroup0]               // wgp0 * MT0
_v_add_u32 v16, s31, v16                           // coord 0 = (tid0/MI_m)*4 + waveG0*MIB_m + MT0*SG0
s_mul_i32 s31, 64, s[sgprWorkGroup1]               // wgp1 * MT1
_v_add_u32 v17, s31, v17                           // coord 1 = (tid0%MI_m) + waveG1*MIB_n + MT1*SG1


/* not-LocalSplitU: global write */

s_cmpk_eq_u32 s[sgprBeta], 0x0                     // Beta == 0
s_cbranch_scc0 GW_Beta_92                          // Branch if Beta is not zero

s_and_b32 s32, 63, s[sgprSizeI]                    // s32 = s[sgprSizeI] % 64
s_add_u32 s33, -0x1, s[sgprNumWorkGroups0]         // 
s_cmp_ge_u32 s[sgprWorkGroup0], s33                // wg0 >= nwg0-1 ?
s_cselect_b32 s32, s32, 0                          // set rMT0
s_cmpk_gt_u32 s32, 0x0                             // rMT0 > 0
s_cbranch_scc1 GW_B0_E1_83                         // jump if edges required
s_and_b32 s32, 63, s[sgprSizeJ]                    // s32 = s[sgprSizeJ] % 64
s_add_u32 s33, -0x1, s[sgprNumWorkGroups1]         // 
s_cmp_ge_u32 s[sgprWorkGroup1], s33                // wg1 >= nwg1-1
s_cselect_b32 s32, s32, 0                          // set rMT1
s_cmpk_gt_u32 s32, 0x0                             // rMT1 > 0
s_cbranch_scc1 GW_B0_E1_83                         // jump if edges required
GW_B0_E0_80:

/* edge=0, allocate 2 sgpr. perBatchTmpS=2 perBatchMaskS=0 perElementMaskS=0 elementsPerBatch=16 */
/* optSingleColVgpr=1 optSharedColVgpr=0 optSGPRUsage=BufferLoad_Mask optSrdIncForRow=1 */

/******************************************/
/* Global Write Alpha Batch #0 (d1,d0,vc1,vc0) = */
/*    (0,0,0,0:vw1); (0,0,1,0:vw1); (0,0,2,0:vw1); (0,0,3,0:vw1); (1,0,0,0:vw1); (1,0,1,0:vw1); (1,0,2,0:vw1); (1,0,3,0:vw1); (2,0,0,0:vw1); (2,0,1,0:vw1); (2,0,2,0:vw1); (2,0,3,0:vw1); (3,0,0,0:vw1); (3,0,1,0:vw1); (3,0,2,0:vw1); (3,0,3,0:vw1) */
/******************************************/

/* calc coords, apply mask, and issue loads (if necessary) */
/* (d1,vc1,d0,vc0)=(0,0,0,0) */
/* (d1,vc1,d0,vc0)=(0,1,0,0) */
	;; [unrolled: 1-line block ×16, first 2 shown]
_v_add_lshl_u32 v22, v19, v16, 0x1                 // optSingleColVgpr scaleToBpe: sharedAddrVgpr <- cinRowPtr + coord0, scaled by BPE. BSHERE:coord0=16, coord0Vgpr=16

/* rC *= alpha batchElements=[(0, 0, 0, 0), (0, 0, 1, 0), (0, 0, 2, 0), (0, 0, 3, 0), (1, 0, 0, 0), (1, 0, 1, 0), (1, 0, 2, 0), (1, 0, 3, 0), (2, 0, 0, 0), (2, 0, 1, 0), (2, 0, 2, 0), (2, 0, 3, 0), (3, 0, 0, 0), (3, 0, 1, 0), (3, 0, 2, 0), (3, 0, 3, 0)] */
v_mul_f32 v[vgprValuC+24], s[sgprAlpha], v[vgprValuC+0] // Multiply MI out reg with alpha
v_mul_f32 v[vgprValuC+25], s[sgprAlpha], v[vgprValuC+1] // Multiply MI out reg with alpha
	;; [unrolled: 1-line block ×16, first 2 shown]

/* apply mask, calc new C and issue writes */
v_cvt_f16_f32 v[vgprValuC+24], v[vgprValuC+24]     // convert C to fp16
_buffer_store_b16 v24, v22, s[sgprSrdD:sgprSrdD+3], 0, offen, offset:0 // store D
v_cvt_f16_f32 v[vgprValuC+25], v[vgprValuC+25]     // convert C to fp16
s_lshl_b32  s32, s[sgprStrideD1J], 1               // incToNextRow: Scale by BPE
s_add_u32  s[sgprSrdD+0], s[sgprSrdD+0], s32       // incToNextRow: gra SRD += inc(lower)
s_addc_u32  s[sgprSrdD+1], s[sgprSrdD+1], 0        // incToNextRow: gra SRD += inc(upper)
_buffer_store_b16 v25, v22, s[sgprSrdD:sgprSrdD+3], 0, offen, offset:0 // store D
v_cvt_f16_f32 v[vgprValuC+26], v[vgprValuC+26]     // convert C to fp16
s_lshl_b32  s32, s[sgprStrideD1J], 1               // incToNextRow: Scale by BPE
s_add_u32  s[sgprSrdD+0], s[sgprSrdD+0], s32       // incToNextRow: gra SRD += inc(lower)
s_addc_u32  s[sgprSrdD+1], s[sgprSrdD+1], 0        // incToNextRow: gra SRD += inc(upper)
_buffer_store_b16 v26, v22, s[sgprSrdD:sgprSrdD+3], 0, offen, offset:0 // store D
v_cvt_f16_f32 v[vgprValuC+27], v[vgprValuC+27]     // convert C to fp16
s_lshl_b32  s32, s[sgprStrideD1J], 1               // incToNextRow: Scale by BPE
s_add_u32  s[sgprSrdD+0], s[sgprSrdD+0], s32       // incToNextRow: gra SRD += inc(lower)
s_addc_u32  s[sgprSrdD+1], s[sgprSrdD+1], 0        // incToNextRow: gra SRD += inc(upper)
_buffer_store_b16 v27, v22, s[sgprSrdD:sgprSrdD+3], 0, offen, offset:0 // store D
v_cvt_f16_f32 v[vgprValuC+28], v[vgprValuC+28]     // convert C to fp16
s_mul_i32 s32, s[sgprStrideD1J], 10                // scale StrideD *= numRows(5) * bpe
s_add_u32  s[sgprSrdD+0], s[sgprSrdD+0], s32       // incToNextRow: gra SRD += inc(lower)
s_addc_u32  s[sgprSrdD+1], s[sgprSrdD+1], 0        // incToNextRow: gra SRD += inc(upper)
_buffer_store_b16 v28, v22, s[sgprSrdD:sgprSrdD+3], 0, offen, offset:0 // store D
v_cvt_f16_f32 v[vgprValuC+29], v[vgprValuC+29]     // convert C to fp16
s_lshl_b32  s32, s[sgprStrideD1J], 1               // incToNextRow: Scale by BPE
s_add_u32  s[sgprSrdD+0], s[sgprSrdD+0], s32       // incToNextRow: gra SRD += inc(lower)
s_addc_u32  s[sgprSrdD+1], s[sgprSrdD+1], 0        // incToNextRow: gra SRD += inc(upper)
_buffer_store_b16 v29, v22, s[sgprSrdD:sgprSrdD+3], 0, offen, offset:0 // store D
v_cvt_f16_f32 v[vgprValuC+30], v[vgprValuC+30]     // convert C to fp16
s_lshl_b32  s32, s[sgprStrideD1J], 1               // incToNextRow: Scale by BPE
s_add_u32  s[sgprSrdD+0], s[sgprSrdD+0], s32       // incToNextRow: gra SRD += inc(lower)
s_addc_u32  s[sgprSrdD+1], s[sgprSrdD+1], 0        // incToNextRow: gra SRD += inc(upper)
_buffer_store_b16 v30, v22, s[sgprSrdD:sgprSrdD+3], 0, offen, offset:0 // store D
v_cvt_f16_f32 v[vgprValuC+31], v[vgprValuC+31]     // convert C to fp16
s_lshl_b32  s32, s[sgprStrideD1J], 1               // incToNextRow: Scale by BPE
s_add_u32  s[sgprSrdD+0], s[sgprSrdD+0], s32       // incToNextRow: gra SRD += inc(lower)
s_addc_u32  s[sgprSrdD+1], s[sgprSrdD+1], 0        // incToNextRow: gra SRD += inc(upper)
_buffer_store_b16 v31, v22, s[sgprSrdD:sgprSrdD+3], 0, offen, offset:0 // store D
v_cvt_f16_f32 v[vgprValuC+37], v[vgprValuC+37]     // convert C to fp16
s_mul_i32 s32, s[sgprStrideD1J], 10                // scale StrideD *= numRows(5) * bpe
s_add_u32  s[sgprSrdD+0], s[sgprSrdD+0], s32       // incToNextRow: gra SRD += inc(lower)
s_addc_u32  s[sgprSrdD+1], s[sgprSrdD+1], 0        // incToNextRow: gra SRD += inc(upper)
	;; [unrolled: 20-line block ×3, first 2 shown]
_buffer_store_b16 v41, v22, s[sgprSrdD:sgprSrdD+3], 0, offen, offset:0 // store D
v_cvt_f16_f32 v[vgprValuC+42], v[vgprValuC+42]     // convert C to fp16
s_lshl_b32  s32, s[sgprStrideD1J], 1               // incToNextRow: Scale by BPE
s_add_u32  s[sgprSrdD+0], s[sgprSrdD+0], s32       // incToNextRow: gra SRD += inc(lower)
s_addc_u32  s[sgprSrdD+1], s[sgprSrdD+1], 0        // incToNextRow: gra SRD += inc(upper)
_buffer_store_b16 v42, v22, s[sgprSrdD:sgprSrdD+3], 0, offen, offset:0 // store D
v_cvt_f16_f32 v[vgprValuC+43], v[vgprValuC+43]     // convert C to fp16
s_lshl_b32  s32, s[sgprStrideD1J], 1               // incToNextRow: Scale by BPE
s_add_u32  s[sgprSrdD+0], s[sgprSrdD+0], s32       // incToNextRow: gra SRD += inc(lower)
s_addc_u32  s[sgprSrdD+1], s[sgprSrdD+1], 0        // incToNextRow: gra SRD += inc(upper)
	;; [unrolled: 5-line block ×3, first 2 shown]
_buffer_store_b16 v44, v22, s[sgprSrdD:sgprSrdD+3], 0, offen, offset:0 // store D
s_nop 0                                            // 1 wait state required when next inst writes vgprs held by previous dwordx4 store inst
s_branch label_GW_End_91                           // jump to end
GW_B0_E1_83:

/* edge=1, allocate 6 sgpr. perBatchTmpS=4 perBatchMaskS=2 perElementMaskS=0 elementsPerBatch=16 */
/* optSingleColVgpr=0 optSharedColVgpr=0 optSGPRUsage=BufferLoad_Edge_Mask optSrdIncForRow=0 */

/******************************************/
/* Global Write Alpha Edge Batch #0 (d1,d0,vc1,vc0) = */
/*    (0,0,0,0:vw1); (0,0,1,0:vw1); (0,0,2,0:vw1); (0,0,3,0:vw1); (1,0,0,0:vw1); (1,0,1,0:vw1); (1,0,2,0:vw1); (1,0,3,0:vw1); (2,0,0,0:vw1); (2,0,1,0:vw1); (2,0,2,0:vw1); (2,0,3,0:vw1); (3,0,0,0:vw1); (3,0,1,0:vw1); (3,0,2,0:vw1); (3,0,3,0:vw1) */
/******************************************/

/* calc coords, apply mask, and issue loads (if necessary) */
/* (d1,vc1,d0,vc0)=(0,0,0,0) */
v_cmp_lt_u32 s[52:53], v16, s[sgprSizeI]           // coord0 < size0
v_cmp_lt_u32 s[56:57], v17, s[sgprSizeJ]           // coord1 < size1
s_and_b64 s[56:57], s[52:53], s[56:57]             // in0 && in1
_v_add_lshl_u32 v22, v19, v16, 0x1                 // scaleToBpe: accumulate d0 lower and *= bpe into Cin addr
v_cndmask_b32 v22, -1, v22, s[56:57]               // LDD clip if OOB. offset
/* (d1,vc1,d0,vc0)=(0,1,0,0) */
_v_add_co_u32 v17, vcc, v17, 1                     // coord1.1: coord1Vgpr += d1*sg1*VW + vc1

/* Fix for UseInitialStridesCD, emitAddressSetupCode */
_v_add_u32 v18, v18, s[sgprStrideC1J]              // ROWINC- Move cinRowPtr to next row
_v_add_u32 v19, v19, s[sgprStrideD1J]              // Move coutRowPtr to next row
v_cmp_lt_u32 s[52:53], v16, s[sgprSizeI]           // coord0 < size0
v_cmp_lt_u32 s[56:57], v17, s[sgprSizeJ]           // coord1 < size1
s_and_b64 s[56:57], s[52:53], s[56:57]             // in0 && in1
_v_add_lshl_u32 v24, v19, v16, 0x1                 // scaleToBpe: accumulate d0 lower and *= bpe into Cin addr
v_cndmask_b32 v24, -1, v24, s[56:57]               // LDD clip if OOB. offset
/* (d1,vc1,d0,vc0)=(0,2,0,0) */
_v_add_co_u32 v17, vcc, v17, 1                     // coord1.1: coord1Vgpr += d1*sg1*VW + vc1

/* Fix for UseInitialStridesCD, emitAddressSetupCode */
_v_add_u32 v18, v18, s[sgprStrideC1J]              // ROWINC- Move cinRowPtr to next row
_v_add_u32 v19, v19, s[sgprStrideD1J]              // Move coutRowPtr to next row
v_cmp_lt_u32 s[52:53], v16, s[sgprSizeI]           // coord0 < size0
v_cmp_lt_u32 s[56:57], v17, s[sgprSizeJ]           // coord1 < size1
s_and_b64 s[56:57], s[52:53], s[56:57]             // in0 && in1
_v_add_lshl_u32 v26, v19, v16, 0x1                 // scaleToBpe: accumulate d0 lower and *= bpe into Cin addr
v_cndmask_b32 v26, -1, v26, s[56:57]               // LDD clip if OOB. offset
/* (d1,vc1,d0,vc0)=(0,3,0,0) */
_v_add_co_u32 v17, vcc, v17, 1                     // coord1.1: coord1Vgpr += d1*sg1*VW + vc1

/* Fix for UseInitialStridesCD, emitAddressSetupCode */
_v_add_u32 v18, v18, s[sgprStrideC1J]              // ROWINC- Move cinRowPtr to next row
_v_add_u32 v19, v19, s[sgprStrideD1J]              // Move coutRowPtr to next row
v_cmp_lt_u32 s[52:53], v16, s[sgprSizeI]           // coord0 < size0
v_cmp_lt_u32 s[56:57], v17, s[sgprSizeJ]           // coord1 < size1
s_and_b64 s[56:57], s[52:53], s[56:57]             // in0 && in1
_v_add_lshl_u32 v28, v19, v16, 0x1                 // scaleToBpe: accumulate d0 lower and *= bpe into Cin addr
v_cndmask_b32 v28, -1, v28, s[56:57]               // LDD clip if OOB. offset
/* (d1,vc1,d0,vc0)=(1,0,0,0) */
_v_add_co_u32 v17, vcc, v17, 5                     // coord1.1: coord1Vgpr += d1*sg1*VW + vc1

/* Fix for UseInitialStridesCD, emitAddressSetupCode */
s_mul_i32 s52, s[sgprStrideC1J], 5                 // scale stride
_v_add_u32 v18, v18, s52                           // ROWINC- Move cinRowPtr to next row
s_mul_i32 s52, s[sgprStrideD1J], 5                 // scale stride
_v_add_u32 v19, v19, s52                           // Move coutRowPtr to next row
v_cmp_lt_u32 s[52:53], v16, s[sgprSizeI]           // coord0 < size0
v_cmp_lt_u32 s[56:57], v17, s[sgprSizeJ]           // coord1 < size1
s_and_b64 s[56:57], s[52:53], s[56:57]             // in0 && in1
_v_add_lshl_u32 v30, v19, v16, 0x1                 // scaleToBpe: accumulate d0 lower and *= bpe into Cin addr
v_cndmask_b32 v30, -1, v30, s[56:57]               // LDD clip if OOB. offset
/* (d1,vc1,d0,vc0)=(1,1,0,0) */
_v_add_co_u32 v17, vcc, v17, 1                     // coord1.1: coord1Vgpr += d1*sg1*VW + vc1

/* Fix for UseInitialStridesCD, emitAddressSetupCode */
_v_add_u32 v18, v18, s[sgprStrideC1J]              // ROWINC- Move cinRowPtr to next row
_v_add_u32 v19, v19, s[sgprStrideD1J]              // Move coutRowPtr to next row
v_cmp_lt_u32 s[52:53], v16, s[sgprSizeI]           // coord0 < size0
v_cmp_lt_u32 s[56:57], v17, s[sgprSizeJ]           // coord1 < size1
s_and_b64 s[56:57], s[52:53], s[56:57]             // in0 && in1
_v_add_lshl_u32 v37, v19, v16, 0x1                 // scaleToBpe: accumulate d0 lower and *= bpe into Cin addr
v_cndmask_b32 v37, -1, v37, s[56:57]               // LDD clip if OOB. offset
/* (d1,vc1,d0,vc0)=(1,2,0,0) */
_v_add_co_u32 v17, vcc, v17, 1                     // coord1.1: coord1Vgpr += d1*sg1*VW + vc1

/* Fix for UseInitialStridesCD, emitAddressSetupCode */
_v_add_u32 v18, v18, s[sgprStrideC1J]              // ROWINC- Move cinRowPtr to next row
_v_add_u32 v19, v19, s[sgprStrideD1J]              // Move coutRowPtr to next row
v_cmp_lt_u32 s[52:53], v16, s[sgprSizeI]           // coord0 < size0
v_cmp_lt_u32 s[56:57], v17, s[sgprSizeJ]           // coord1 < size1
s_and_b64 s[56:57], s[52:53], s[56:57]             // in0 && in1
_v_add_lshl_u32 v39, v19, v16, 0x1                 // scaleToBpe: accumulate d0 lower and *= bpe into Cin addr
v_cndmask_b32 v39, -1, v39, s[56:57]               // LDD clip if OOB. offset
/* (d1,vc1,d0,vc0)=(1,3,0,0) */
_v_add_co_u32 v17, vcc, v17, 1                     // coord1.1: coord1Vgpr += d1*sg1*VW + vc1

/* Fix for UseInitialStridesCD, emitAddressSetupCode */
_v_add_u32 v18, v18, s[sgprStrideC1J]              // ROWINC- Move cinRowPtr to next row
_v_add_u32 v19, v19, s[sgprStrideD1J]              // Move coutRowPtr to next row
v_cmp_lt_u32 s[52:53], v16, s[sgprSizeI]           // coord0 < size0
v_cmp_lt_u32 s[56:57], v17, s[sgprSizeJ]           // coord1 < size1
s_and_b64 s[56:57], s[52:53], s[56:57]             // in0 && in1
_v_add_lshl_u32 v41, v19, v16, 0x1                 // scaleToBpe: accumulate d0 lower and *= bpe into Cin addr
v_cndmask_b32 v41, -1, v41, s[56:57]               // LDD clip if OOB. offset
/* (d1,vc1,d0,vc0)=(2,0,0,0) */
_v_add_co_u32 v17, vcc, v17, 5                     // coord1.1: coord1Vgpr += d1*sg1*VW + vc1

/* Fix for UseInitialStridesCD, emitAddressSetupCode */
s_mul_i32 s52, s[sgprStrideC1J], 5                 // scale stride
_v_add_u32 v18, v18, s52                           // ROWINC- Move cinRowPtr to next row
s_mul_i32 s52, s[sgprStrideD1J], 5                 // scale stride
_v_add_u32 v19, v19, s52                           // Move coutRowPtr to next row
	;; [unrolled: 46-line block ×3, first 2 shown]
v_cmp_lt_u32 s[52:53], v16, s[sgprSizeI]           // coord0 < size0
v_cmp_lt_u32 s[56:57], v17, s[sgprSizeJ]           // coord1 < size1
s_and_b64 s[56:57], s[52:53], s[56:57]             // in0 && in1
_v_add_lshl_u32 v51, v19, v16, 0x1                 // scaleToBpe: accumulate d0 lower and *= bpe into Cin addr
v_cndmask_b32 v51, -1, v51, s[56:57]               // LDD clip if OOB. offset
/* (d1,vc1,d0,vc0)=(3,1,0,0) */
_v_add_co_u32 v17, vcc, v17, 1                     // coord1.1: coord1Vgpr += d1*sg1*VW + vc1

/* Fix for UseInitialStridesCD, emitAddressSetupCode */
_v_add_u32 v18, v18, s[sgprStrideC1J]              // ROWINC- Move cinRowPtr to next row
_v_add_u32 v19, v19, s[sgprStrideD1J]              // Move coutRowPtr to next row
v_cmp_lt_u32 s[52:53], v16, s[sgprSizeI]           // coord0 < size0
v_cmp_lt_u32 s[56:57], v17, s[sgprSizeJ]           // coord1 < size1
s_and_b64 s[56:57], s[52:53], s[56:57]             // in0 && in1
_v_add_lshl_u32 v53, v19, v16, 0x1                 // scaleToBpe: accumulate d0 lower and *= bpe into Cin addr
v_cndmask_b32 v53, -1, v53, s[56:57]               // LDD clip if OOB. offset
/* (d1,vc1,d0,vc0)=(3,2,0,0) */
_v_add_co_u32 v17, vcc, v17, 1                     // coord1.1: coord1Vgpr += d1*sg1*VW + vc1

/* Fix for UseInitialStridesCD, emitAddressSetupCode */
_v_add_u32 v18, v18, s[sgprStrideC1J]              // ROWINC- Move cinRowPtr to next row
_v_add_u32 v19, v19, s[sgprStrideD1J]              // Move coutRowPtr to next row
	;; [unrolled: 11-line block ×3, first 2 shown]
v_cmp_lt_u32 s[52:53], v16, s[sgprSizeI]           // coord0 < size0
v_cmp_lt_u32 s[56:57], v17, s[sgprSizeJ]           // coord1 < size1
s_and_b64 s[56:57], s[52:53], s[56:57]             // in0 && in1
_v_add_lshl_u32 v57, v19, v16, 0x1                 // scaleToBpe: accumulate d0 lower and *= bpe into Cin addr
v_cndmask_b32 v57, -1, v57, s[56:57]               // LDD clip if OOB. offset

/* rC *= alpha batchElements=[(0, 0, 0, 0), (0, 0, 1, 0), (0, 0, 2, 0), (0, 0, 3, 0), (1, 0, 0, 0), (1, 0, 1, 0), (1, 0, 2, 0), (1, 0, 3, 0), (2, 0, 0, 0), (2, 0, 1, 0), (2, 0, 2, 0), (2, 0, 3, 0), (3, 0, 0, 0), (3, 0, 1, 0), (3, 0, 2, 0), (3, 0, 3, 0)] */
v_mul_f32 v[vgprValuC+23], s[sgprAlpha], v[vgprValuC+0] // Multiply MI out reg with alpha
v_mul_f32 v[vgprValuC+25], s[sgprAlpha], v[vgprValuC+1] // Multiply MI out reg with alpha
	;; [unrolled: 1-line block ×16, first 2 shown]

/* apply mask, calc new C and issue writes */
v_cvt_f16_f32 v[vgprValuC+23], v[vgprValuC+23]     // convert C to fp16
_buffer_store_b16 v23, v22, s[sgprSrdD:sgprSrdD+3], 0, offen, offset:0 // store D
v_cvt_f16_f32 v[vgprValuC+25], v[vgprValuC+25]     // convert C to fp16
_buffer_store_b16 v25, v24, s[sgprSrdD:sgprSrdD+3], 0, offen, offset:0 // store D
	;; [unrolled: 2-line block ×16, first 2 shown]
s_nop 0                                            // 1 wait state required when next inst writes vgprs held by previous dwordx4 store inst
s_branch label_GW_End_91                           // jump to end
GW_Beta_92:
s_and_b32 s32, 63, s[sgprSizeI]                    // s32 = s[sgprSizeI] % 64
s_add_u32 s33, -0x1, s[sgprNumWorkGroups0]         // 
s_cmp_ge_u32 s[sgprWorkGroup0], s33                // wg0 >= nwg0-1 ?
s_cselect_b32 s32, s32, 0                          // set rMT0
s_cmpk_gt_u32 s32, 0x0                             // rMT0 > 0
s_cbranch_scc1 GW_B1_E1_90                         // jump if edges required
s_and_b32 s32, 63, s[sgprSizeJ]                    // s32 = s[sgprSizeJ] % 64
s_add_u32 s33, -0x1, s[sgprNumWorkGroups1]         // 
s_cmp_ge_u32 s[sgprWorkGroup1], s33                // wg1 >= nwg1-1
s_cselect_b32 s32, s32, 0                          // set rMT1
s_cmpk_gt_u32 s32, 0x0                             // rMT1 > 0
s_cbranch_scc1 GW_B1_E1_90                         // jump if edges required
GW_B1_E0_87:

/* edge=0, allocate 2 sgpr. perBatchTmpS=2 perBatchMaskS=0 perElementMaskS=0 elementsPerBatch=16 */
/* optSingleColVgpr=1 optSharedColVgpr=0 optSGPRUsage=BufferLoad_Mask optSrdIncForRow=1 */

/******************************************/
/* Global Write Alpha Beta Batch #0 (d1,d0,vc1,vc0) = */
/*    (0,0,0,0:vw1); (0,0,1,0:vw1); (0,0,2,0:vw1); (0,0,3,0:vw1); (1,0,0,0:vw1); (1,0,1,0:vw1); (1,0,2,0:vw1); (1,0,3,0:vw1); (2,0,0,0:vw1); (2,0,1,0:vw1); (2,0,2,0:vw1); (2,0,3,0:vw1); (3,0,0,0:vw1); (3,0,1,0:vw1); (3,0,2,0:vw1); (3,0,3,0:vw1) */
/******************************************/

/* calc coords, apply mask, and issue loads (if necessary) */
/* (d1,vc1,d0,vc0)=(0,0,0,0) */
_v_add_lshl_u32 v23, v18, v16, 0x1                 // optSingleColVgpr scaleToBpe: sharedAddrVgpr <- cinRowPtr + coord0, scaled by BPE. BSHERE:coord0=16, coord0Vgpr=16
_buffer_load_d16_b16 v24, v23, s[sgprSrdC:sgprSrdC+3], 0, offen offset:0 // load C for beta calc
/* (d1,vc1,d0,vc0)=(0,1,0,0) */
s_lshl_b32  s32, s[sgprStrideC1J], 1               // incToNextRow: Scale by BPE
s_add_u32  s[sgprSrdC+0], s[sgprSrdC+0], s32       // incToNextRow: gra SRD += inc(lower)
s_addc_u32  s[sgprSrdC+1], s[sgprSrdC+1], 0        // incToNextRow: gra SRD += inc(upper)
_buffer_load_d16_b16 v26, v23, s[sgprSrdC:sgprSrdC+3], 0, offen offset:0 // load C for beta calc
/* (d1,vc1,d0,vc0)=(0,2,0,0) */
s_lshl_b32  s32, s[sgprStrideC1J], 1               // incToNextRow: Scale by BPE
s_add_u32  s[sgprSrdC+0], s[sgprSrdC+0], s32       // incToNextRow: gra SRD += inc(lower)
s_addc_u32  s[sgprSrdC+1], s[sgprSrdC+1], 0        // incToNextRow: gra SRD += inc(upper)
_buffer_load_d16_b16 v28, v23, s[sgprSrdC:sgprSrdC+3], 0, offen offset:0 // load C for beta calc
/* (d1,vc1,d0,vc0)=(0,3,0,0) */
s_lshl_b32  s32, s[sgprStrideC1J], 1               // incToNextRow: Scale by BPE
s_add_u32  s[sgprSrdC+0], s[sgprSrdC+0], s32       // incToNextRow: gra SRD += inc(lower)
s_addc_u32  s[sgprSrdC+1], s[sgprSrdC+1], 0        // incToNextRow: gra SRD += inc(upper)
_buffer_load_d16_b16 v30, v23, s[sgprSrdC:sgprSrdC+3], 0, offen offset:0 // load C for beta calc
/* (d1,vc1,d0,vc0)=(1,0,0,0) */
s_mul_i32 s32, s[sgprStrideC1J], 10                // scale StrideC *= numRows(5) * bpe
s_add_u32  s[sgprSrdC+0], s[sgprSrdC+0], s32       // incToNextRow: gra SRD += inc(lower)
s_addc_u32  s[sgprSrdC+1], s[sgprSrdC+1], 0        // incToNextRow: gra SRD += inc(upper)
_buffer_load_d16_b16 v37, v23, s[sgprSrdC:sgprSrdC+3], 0, offen offset:0 // load C for beta calc
/* (d1,vc1,d0,vc0)=(1,1,0,0) */
s_lshl_b32  s32, s[sgprStrideC1J], 1               // incToNextRow: Scale by BPE
s_add_u32  s[sgprSrdC+0], s[sgprSrdC+0], s32       // incToNextRow: gra SRD += inc(lower)
s_addc_u32  s[sgprSrdC+1], s[sgprSrdC+1], 0        // incToNextRow: gra SRD += inc(upper)
_buffer_load_d16_b16 v39, v23, s[sgprSrdC:sgprSrdC+3], 0, offen offset:0 // load C for beta calc
/* (d1,vc1,d0,vc0)=(1,2,0,0) */
s_lshl_b32  s32, s[sgprStrideC1J], 1               // incToNextRow: Scale by BPE
s_add_u32  s[sgprSrdC+0], s[sgprSrdC+0], s32       // incToNextRow: gra SRD += inc(lower)
s_addc_u32  s[sgprSrdC+1], s[sgprSrdC+1], 0        // incToNextRow: gra SRD += inc(upper)
_buffer_load_d16_b16 v41, v23, s[sgprSrdC:sgprSrdC+3], 0, offen offset:0 // load C for beta calc
/* (d1,vc1,d0,vc0)=(1,3,0,0) */
s_lshl_b32  s32, s[sgprStrideC1J], 1               // incToNextRow: Scale by BPE
s_add_u32  s[sgprSrdC+0], s[sgprSrdC+0], s32       // incToNextRow: gra SRD += inc(lower)
s_addc_u32  s[sgprSrdC+1], s[sgprSrdC+1], 0        // incToNextRow: gra SRD += inc(upper)
_buffer_load_d16_b16 v43, v23, s[sgprSrdC:sgprSrdC+3], 0, offen offset:0 // load C for beta calc
/* (d1,vc1,d0,vc0)=(2,0,0,0) */
s_mul_i32 s32, s[sgprStrideC1J], 10                // scale StrideC *= numRows(5) * bpe
s_add_u32  s[sgprSrdC+0], s[sgprSrdC+0], s32       // incToNextRow: gra SRD += inc(lower)
s_addc_u32  s[sgprSrdC+1], s[sgprSrdC+1], 0        // incToNextRow: gra SRD += inc(upper)
	;; [unrolled: 20-line block ×3, first 2 shown]
_buffer_load_d16_b16 v53, v23, s[sgprSrdC:sgprSrdC+3], 0, offen offset:0 // load C for beta calc
/* (d1,vc1,d0,vc0)=(3,1,0,0) */
s_lshl_b32  s32, s[sgprStrideC1J], 1               // incToNextRow: Scale by BPE
s_add_u32  s[sgprSrdC+0], s[sgprSrdC+0], s32       // incToNextRow: gra SRD += inc(lower)
s_addc_u32  s[sgprSrdC+1], s[sgprSrdC+1], 0        // incToNextRow: gra SRD += inc(upper)
_buffer_load_d16_b16 v55, v23, s[sgprSrdC:sgprSrdC+3], 0, offen offset:0 // load C for beta calc
/* (d1,vc1,d0,vc0)=(3,2,0,0) */
s_lshl_b32  s32, s[sgprStrideC1J], 1               // incToNextRow: Scale by BPE
s_add_u32  s[sgprSrdC+0], s[sgprSrdC+0], s32       // incToNextRow: gra SRD += inc(lower)
s_addc_u32  s[sgprSrdC+1], s[sgprSrdC+1], 0        // incToNextRow: gra SRD += inc(upper)
	;; [unrolled: 5-line block ×3, first 2 shown]
_buffer_load_d16_b16 v59, v23, s[sgprSrdC:sgprSrdC+3], 0, offen offset:0 // load C for beta calc
_v_add_lshl_u32 v22, v19, v16, 0x1                 // optSingleColVgpr scaleToBpe: sharedAddrVgpr <- cinRowPtr + coord0, scaled by BPE. BSHERE:coord0=16, coord0Vgpr=16

/* rC *= alpha batchElements=[(0, 0, 0, 0), (0, 0, 1, 0), (0, 0, 2, 0), (0, 0, 3, 0), (1, 0, 0, 0), (1, 0, 1, 0), (1, 0, 2, 0), (1, 0, 3, 0), (2, 0, 0, 0), (2, 0, 1, 0), (2, 0, 2, 0), (2, 0, 3, 0), (3, 0, 0, 0), (3, 0, 1, 0), (3, 0, 2, 0), (3, 0, 3, 0)] */
v_mul_f32 v[vgprValuC+25], s[sgprAlpha], v[vgprValuC+0] // Multiply MI out reg with alpha
v_mul_f32 v[vgprValuC+27], s[sgprAlpha], v[vgprValuC+1] // Multiply MI out reg with alpha
	;; [unrolled: 1-line block ×16, first 2 shown]

/* apply mask, calc new C and issue writes */

s_waitcnt vmcnt(15)                                // wait C (interleaved) 15 = 16 - 0 + 0 - 1
v_fma_mix_f32 v[vgprValuC+25], s[sgprBeta], v24, v[vgprValuC+25], op_sel:[0,0,0] op_sel_hi:[0,1,0] // //C*=beta
v_cvt_f16_f32 v[vgprValuC+25], v[vgprValuC+25]     // convert C to fp16
_buffer_store_b16 v25, v22, s[sgprSrdD:sgprSrdD+3], 0, offen, offset:0 // store D

s_waitcnt vmcnt(15)                                // wait C (interleaved) 15 = 16 - 1 + 1 - 1
v_fma_mix_f32 v[vgprValuC+27], s[sgprBeta], v26, v[vgprValuC+27], op_sel:[0,0,0] op_sel_hi:[0,1,0] // //C*=beta
v_cvt_f16_f32 v[vgprValuC+27], v[vgprValuC+27]     // convert C to fp16
s_lshl_b32  s32, s[sgprStrideD1J], 1               // incToNextRow: Scale by BPE
s_add_u32  s[sgprSrdD+0], s[sgprSrdD+0], s32       // incToNextRow: gra SRD += inc(lower)
s_addc_u32  s[sgprSrdD+1], s[sgprSrdD+1], 0        // incToNextRow: gra SRD += inc(upper)
_buffer_store_b16 v27, v22, s[sgprSrdD:sgprSrdD+3], 0, offen, offset:0 // store D

s_waitcnt vmcnt(15)                                // wait C (interleaved) 15 = 16 - 2 + 2 - 1
v_fma_mix_f32 v[vgprValuC+29], s[sgprBeta], v28, v[vgprValuC+29], op_sel:[0,0,0] op_sel_hi:[0,1,0] // //C*=beta
v_cvt_f16_f32 v[vgprValuC+29], v[vgprValuC+29]     // convert C to fp16
s_lshl_b32  s32, s[sgprStrideD1J], 1               // incToNextRow: Scale by BPE
s_add_u32  s[sgprSrdD+0], s[sgprSrdD+0], s32       // incToNextRow: gra SRD += inc(lower)
s_addc_u32  s[sgprSrdD+1], s[sgprSrdD+1], 0        // incToNextRow: gra SRD += inc(upper)
_buffer_store_b16 v29, v22, s[sgprSrdD:sgprSrdD+3], 0, offen, offset:0 // store D

s_waitcnt vmcnt(15)                                // wait C (interleaved) 15 = 16 - 3 + 3 - 1
v_fma_mix_f32 v[vgprValuC+31], s[sgprBeta], v30, v[vgprValuC+31], op_sel:[0,0,0] op_sel_hi:[0,1,0] // //C*=beta
v_cvt_f16_f32 v[vgprValuC+31], v[vgprValuC+31]     // convert C to fp16
s_lshl_b32  s32, s[sgprStrideD1J], 1               // incToNextRow: Scale by BPE
s_add_u32  s[sgprSrdD+0], s[sgprSrdD+0], s32       // incToNextRow: gra SRD += inc(lower)
s_addc_u32  s[sgprSrdD+1], s[sgprSrdD+1], 0        // incToNextRow: gra SRD += inc(upper)
_buffer_store_b16 v31, v22, s[sgprSrdD:sgprSrdD+3], 0, offen, offset:0 // store D

s_waitcnt vmcnt(15)                                // wait C (interleaved) 15 = 16 - 4 + 4 - 1
v_fma_mix_f32 v[vgprValuC+38], s[sgprBeta], v37, v[vgprValuC+38], op_sel:[0,0,0] op_sel_hi:[0,1,0] // //C*=beta
v_cvt_f16_f32 v[vgprValuC+38], v[vgprValuC+38]     // convert C to fp16
s_mul_i32 s32, s[sgprStrideD1J], 10                // scale StrideD *= numRows(5) * bpe
s_add_u32  s[sgprSrdD+0], s[sgprSrdD+0], s32       // incToNextRow: gra SRD += inc(lower)
s_addc_u32  s[sgprSrdD+1], s[sgprSrdD+1], 0        // incToNextRow: gra SRD += inc(upper)
_buffer_store_b16 v38, v22, s[sgprSrdD:sgprSrdD+3], 0, offen, offset:0 // store D

s_waitcnt vmcnt(15)                                // wait C (interleaved) 15 = 16 - 5 + 5 - 1
v_fma_mix_f32 v[vgprValuC+40], s[sgprBeta], v39, v[vgprValuC+40], op_sel:[0,0,0] op_sel_hi:[0,1,0] // //C*=beta
v_cvt_f16_f32 v[vgprValuC+40], v[vgprValuC+40]     // convert C to fp16
s_lshl_b32  s32, s[sgprStrideD1J], 1               // incToNextRow: Scale by BPE
s_add_u32  s[sgprSrdD+0], s[sgprSrdD+0], s32       // incToNextRow: gra SRD += inc(lower)
s_addc_u32  s[sgprSrdD+1], s[sgprSrdD+1], 0        // incToNextRow: gra SRD += inc(upper)
_buffer_store_b16 v40, v22, s[sgprSrdD:sgprSrdD+3], 0, offen, offset:0 // store D

s_waitcnt vmcnt(15)                                // wait C (interleaved) 15 = 16 - 6 + 6 - 1
v_fma_mix_f32 v[vgprValuC+42], s[sgprBeta], v41, v[vgprValuC+42], op_sel:[0,0,0] op_sel_hi:[0,1,0] // //C*=beta
v_cvt_f16_f32 v[vgprValuC+42], v[vgprValuC+42]     // convert C to fp16
s_lshl_b32  s32, s[sgprStrideD1J], 1               // incToNextRow: Scale by BPE
s_add_u32  s[sgprSrdD+0], s[sgprSrdD+0], s32       // incToNextRow: gra SRD += inc(lower)
s_addc_u32  s[sgprSrdD+1], s[sgprSrdD+1], 0        // incToNextRow: gra SRD += inc(upper)
_buffer_store_b16 v42, v22, s[sgprSrdD:sgprSrdD+3], 0, offen, offset:0 // store D

s_waitcnt vmcnt(15)                                // wait C (interleaved) 15 = 16 - 7 + 7 - 1
v_fma_mix_f32 v[vgprValuC+44], s[sgprBeta], v43, v[vgprValuC+44], op_sel:[0,0,0] op_sel_hi:[0,1,0] // //C*=beta
v_cvt_f16_f32 v[vgprValuC+44], v[vgprValuC+44]     // convert C to fp16
s_lshl_b32  s32, s[sgprStrideD1J], 1               // incToNextRow: Scale by BPE
s_add_u32  s[sgprSrdD+0], s[sgprSrdD+0], s32       // incToNextRow: gra SRD += inc(lower)
s_addc_u32  s[sgprSrdD+1], s[sgprSrdD+1], 0        // incToNextRow: gra SRD += inc(upper)
_buffer_store_b16 v44, v22, s[sgprSrdD:sgprSrdD+3], 0, offen, offset:0 // store D

s_waitcnt vmcnt(15)                                // wait C (interleaved) 15 = 16 - 8 + 8 - 1
v_fma_mix_f32 v[vgprValuC+46], s[sgprBeta], v45, v[vgprValuC+46], op_sel:[0,0,0] op_sel_hi:[0,1,0] // //C*=beta
v_cvt_f16_f32 v[vgprValuC+46], v[vgprValuC+46]     // convert C to fp16
s_mul_i32 s32, s[sgprStrideD1J], 10                // scale StrideD *= numRows(5) * bpe
s_add_u32  s[sgprSrdD+0], s[sgprSrdD+0], s32       // incToNextRow: gra SRD += inc(lower)
s_addc_u32  s[sgprSrdD+1], s[sgprSrdD+1], 0        // incToNextRow: gra SRD += inc(upper)
	;; [unrolled: 32-line block ×3, first 2 shown]
_buffer_store_b16 v54, v22, s[sgprSrdD:sgprSrdD+3], 0, offen, offset:0 // store D

s_waitcnt vmcnt(15)                                // wait C (interleaved) 15 = 16 - 13 + 13 - 1
v_fma_mix_f32 v[vgprValuC+56], s[sgprBeta], v55, v[vgprValuC+56], op_sel:[0,0,0] op_sel_hi:[0,1,0] // //C*=beta
v_cvt_f16_f32 v[vgprValuC+56], v[vgprValuC+56]     // convert C to fp16
s_lshl_b32  s32, s[sgprStrideD1J], 1               // incToNextRow: Scale by BPE
s_add_u32  s[sgprSrdD+0], s[sgprSrdD+0], s32       // incToNextRow: gra SRD += inc(lower)
s_addc_u32  s[sgprSrdD+1], s[sgprSrdD+1], 0        // incToNextRow: gra SRD += inc(upper)
_buffer_store_b16 v56, v22, s[sgprSrdD:sgprSrdD+3], 0, offen, offset:0 // store D

s_waitcnt vmcnt(15)                                // wait C (interleaved) 15 = 16 - 14 + 14 - 1
v_fma_mix_f32 v[vgprValuC+58], s[sgprBeta], v57, v[vgprValuC+58], op_sel:[0,0,0] op_sel_hi:[0,1,0] // //C*=beta
v_cvt_f16_f32 v[vgprValuC+58], v[vgprValuC+58]     // convert C to fp16
s_lshl_b32  s32, s[sgprStrideD1J], 1               // incToNextRow: Scale by BPE
s_add_u32  s[sgprSrdD+0], s[sgprSrdD+0], s32       // incToNextRow: gra SRD += inc(lower)
s_addc_u32  s[sgprSrdD+1], s[sgprSrdD+1], 0        // incToNextRow: gra SRD += inc(upper)
	;; [unrolled: 8-line block ×3, first 2 shown]
_buffer_store_b16 v60, v22, s[sgprSrdD:sgprSrdD+3], 0, offen, offset:0 // store D
s_nop 0                                            // 1 wait state required when next inst writes vgprs held by previous dwordx4 store inst
s_branch label_GW_End_91                           // jump to end
GW_B1_E1_90:

/* edge=1, allocate 6 sgpr. perBatchTmpS=4 perBatchMaskS=2 perElementMaskS=0 elementsPerBatch=12 */
/* optSingleColVgpr=0 optSharedColVgpr=0 optSGPRUsage=BufferLoad_Edge_Mask optSrdIncForRow=0 */

/******************************************/
/* Global Write Alpha Beta Edge Batch #0 (d1,d0,vc1,vc0) = */
/*    (0,0,0,0:vw1); (0,0,1,0:vw1); (0,0,2,0:vw1); (0,0,3,0:vw1); (1,0,0,0:vw1); (1,0,1,0:vw1); (1,0,2,0:vw1); (1,0,3,0:vw1); (2,0,0,0:vw1); (2,0,1,0:vw1); (2,0,2,0:vw1); (2,0,3,0:vw1) */
/******************************************/

/* calc coords, apply mask, and issue loads (if necessary) */
/* (d1,vc1,d0,vc0)=(0,0,0,0) */
v_cmp_lt_u32 s[52:53], v16, s[sgprSizeI]           // coord0 < size0
v_cmp_lt_u32 s[56:57], v17, s[sgprSizeJ]           // coord1 < size1
s_and_b64 s[56:57], s[52:53], s[56:57]             // in0 && in1
_v_add_lshl_u32 v22, v18, v16, 0x1                 // scaleToBpe: accumulate d0 lower and *= bpe into Cin addr
v_cndmask_b32 v22, -1, v22, s[56:57]               // LDC clip if OOB. offset
_buffer_load_d16_b16 v23, v22, s[sgprSrdC:sgprSrdC+3], 0, offen offset:0 // load C for beta calc
_v_add_lshl_u32 v22, v19, v16, 0x1                 // scaleToBpe: accumulate d0 lower and *= bpe into Cin addr
v_cndmask_b32 v22, -1, v22, s[56:57]               // LDD clip if OOB. offset
/* (d1,vc1,d0,vc0)=(0,1,0,0) */
_v_add_co_u32 v17, vcc, v17, 1                     // coord1.1: coord1Vgpr += d1*sg1*VW + vc1

/* Fix for UseInitialStridesCD, emitAddressSetupCode */
_v_add_u32 v18, v18, s[sgprStrideC1J]              // ROWINC- Move cinRowPtr to next row
_v_add_u32 v19, v19, s[sgprStrideD1J]              // Move coutRowPtr to next row
v_cmp_lt_u32 s[52:53], v16, s[sgprSizeI]           // coord0 < size0
v_cmp_lt_u32 s[56:57], v17, s[sgprSizeJ]           // coord1 < size1
s_and_b64 s[56:57], s[52:53], s[56:57]             // in0 && in1
_v_add_lshl_u32 v25, v18, v16, 0x1                 // scaleToBpe: accumulate d0 lower and *= bpe into Cin addr
v_cndmask_b32 v25, -1, v25, s[56:57]               // LDC clip if OOB. offset
_buffer_load_d16_b16 v26, v25, s[sgprSrdC:sgprSrdC+3], 0, offen offset:0 // load C for beta calc
_v_add_lshl_u32 v25, v19, v16, 0x1                 // scaleToBpe: accumulate d0 lower and *= bpe into Cin addr
v_cndmask_b32 v25, -1, v25, s[56:57]               // LDD clip if OOB. offset
/* (d1,vc1,d0,vc0)=(0,2,0,0) */
_v_add_co_u32 v17, vcc, v17, 1                     // coord1.1: coord1Vgpr += d1*sg1*VW + vc1

/* Fix for UseInitialStridesCD, emitAddressSetupCode */
_v_add_u32 v18, v18, s[sgprStrideC1J]              // ROWINC- Move cinRowPtr to next row
_v_add_u32 v19, v19, s[sgprStrideD1J]              // Move coutRowPtr to next row
	;; [unrolled: 14-line block ×3, first 2 shown]
v_cmp_lt_u32 s[52:53], v16, s[sgprSizeI]           // coord0 < size0
v_cmp_lt_u32 s[56:57], v17, s[sgprSizeJ]           // coord1 < size1
s_and_b64 s[56:57], s[52:53], s[56:57]             // in0 && in1
_v_add_lshl_u32 v31, v18, v16, 0x1                 // scaleToBpe: accumulate d0 lower and *= bpe into Cin addr
v_cndmask_b32 v31, -1, v31, s[56:57]               // LDC clip if OOB. offset
_buffer_load_d16_b16 v37, v31, s[sgprSrdC:sgprSrdC+3], 0, offen offset:0 // load C for beta calc
_v_add_lshl_u32 v31, v19, v16, 0x1                 // scaleToBpe: accumulate d0 lower and *= bpe into Cin addr
v_cndmask_b32 v31, -1, v31, s[56:57]               // LDD clip if OOB. offset
/* (d1,vc1,d0,vc0)=(1,0,0,0) */
_v_add_co_u32 v17, vcc, v17, 5                     // coord1.1: coord1Vgpr += d1*sg1*VW + vc1

/* Fix for UseInitialStridesCD, emitAddressSetupCode */
s_mul_i32 s52, s[sgprStrideC1J], 5                 // scale stride
_v_add_u32 v18, v18, s52                           // ROWINC- Move cinRowPtr to next row
s_mul_i32 s52, s[sgprStrideD1J], 5                 // scale stride
_v_add_u32 v19, v19, s52                           // Move coutRowPtr to next row
v_cmp_lt_u32 s[52:53], v16, s[sgprSizeI]           // coord0 < size0
v_cmp_lt_u32 s[56:57], v17, s[sgprSizeJ]           // coord1 < size1
s_and_b64 s[56:57], s[52:53], s[56:57]             // in0 && in1
_v_add_lshl_u32 v39, v18, v16, 0x1                 // scaleToBpe: accumulate d0 lower and *= bpe into Cin addr
v_cndmask_b32 v39, -1, v39, s[56:57]               // LDC clip if OOB. offset
_buffer_load_d16_b16 v40, v39, s[sgprSrdC:sgprSrdC+3], 0, offen offset:0 // load C for beta calc
_v_add_lshl_u32 v39, v19, v16, 0x1                 // scaleToBpe: accumulate d0 lower and *= bpe into Cin addr
v_cndmask_b32 v39, -1, v39, s[56:57]               // LDD clip if OOB. offset
/* (d1,vc1,d0,vc0)=(1,1,0,0) */
_v_add_co_u32 v17, vcc, v17, 1                     // coord1.1: coord1Vgpr += d1*sg1*VW + vc1

/* Fix for UseInitialStridesCD, emitAddressSetupCode */
_v_add_u32 v18, v18, s[sgprStrideC1J]              // ROWINC- Move cinRowPtr to next row
_v_add_u32 v19, v19, s[sgprStrideD1J]              // Move coutRowPtr to next row
v_cmp_lt_u32 s[52:53], v16, s[sgprSizeI]           // coord0 < size0
v_cmp_lt_u32 s[56:57], v17, s[sgprSizeJ]           // coord1 < size1
s_and_b64 s[56:57], s[52:53], s[56:57]             // in0 && in1
_v_add_lshl_u32 v42, v18, v16, 0x1                 // scaleToBpe: accumulate d0 lower and *= bpe into Cin addr
v_cndmask_b32 v42, -1, v42, s[56:57]               // LDC clip if OOB. offset
_buffer_load_d16_b16 v43, v42, s[sgprSrdC:sgprSrdC+3], 0, offen offset:0 // load C for beta calc
_v_add_lshl_u32 v42, v19, v16, 0x1                 // scaleToBpe: accumulate d0 lower and *= bpe into Cin addr
v_cndmask_b32 v42, -1, v42, s[56:57]               // LDD clip if OOB. offset
/* (d1,vc1,d0,vc0)=(1,2,0,0) */
_v_add_co_u32 v17, vcc, v17, 1                     // coord1.1: coord1Vgpr += d1*sg1*VW + vc1

/* Fix for UseInitialStridesCD, emitAddressSetupCode */
_v_add_u32 v18, v18, s[sgprStrideC1J]              // ROWINC- Move cinRowPtr to next row
_v_add_u32 v19, v19, s[sgprStrideD1J]              // Move coutRowPtr to next row
	;; [unrolled: 14-line block ×3, first 2 shown]
v_cmp_lt_u32 s[52:53], v16, s[sgprSizeI]           // coord0 < size0
v_cmp_lt_u32 s[56:57], v17, s[sgprSizeJ]           // coord1 < size1
s_and_b64 s[56:57], s[52:53], s[56:57]             // in0 && in1
_v_add_lshl_u32 v48, v18, v16, 0x1                 // scaleToBpe: accumulate d0 lower and *= bpe into Cin addr
v_cndmask_b32 v48, -1, v48, s[56:57]               // LDC clip if OOB. offset
_buffer_load_d16_b16 v49, v48, s[sgprSrdC:sgprSrdC+3], 0, offen offset:0 // load C for beta calc
_v_add_lshl_u32 v48, v19, v16, 0x1                 // scaleToBpe: accumulate d0 lower and *= bpe into Cin addr
v_cndmask_b32 v48, -1, v48, s[56:57]               // LDD clip if OOB. offset
/* (d1,vc1,d0,vc0)=(2,0,0,0) */
_v_add_co_u32 v17, vcc, v17, 5                     // coord1.1: coord1Vgpr += d1*sg1*VW + vc1

/* Fix for UseInitialStridesCD, emitAddressSetupCode */
s_mul_i32 s52, s[sgprStrideC1J], 5                 // scale stride
_v_add_u32 v18, v18, s52                           // ROWINC- Move cinRowPtr to next row
s_mul_i32 s52, s[sgprStrideD1J], 5                 // scale stride
_v_add_u32 v19, v19, s52                           // Move coutRowPtr to next row
v_cmp_lt_u32 s[52:53], v16, s[sgprSizeI]           // coord0 < size0
v_cmp_lt_u32 s[56:57], v17, s[sgprSizeJ]           // coord1 < size1
s_and_b64 s[56:57], s[52:53], s[56:57]             // in0 && in1
_v_add_lshl_u32 v51, v18, v16, 0x1                 // scaleToBpe: accumulate d0 lower and *= bpe into Cin addr
v_cndmask_b32 v51, -1, v51, s[56:57]               // LDC clip if OOB. offset
_buffer_load_d16_b16 v52, v51, s[sgprSrdC:sgprSrdC+3], 0, offen offset:0 // load C for beta calc
_v_add_lshl_u32 v51, v19, v16, 0x1                 // scaleToBpe: accumulate d0 lower and *= bpe into Cin addr
v_cndmask_b32 v51, -1, v51, s[56:57]               // LDD clip if OOB. offset
/* (d1,vc1,d0,vc0)=(2,1,0,0) */
_v_add_co_u32 v17, vcc, v17, 1                     // coord1.1: coord1Vgpr += d1*sg1*VW + vc1

/* Fix for UseInitialStridesCD, emitAddressSetupCode */
_v_add_u32 v18, v18, s[sgprStrideC1J]              // ROWINC- Move cinRowPtr to next row
_v_add_u32 v19, v19, s[sgprStrideD1J]              // Move coutRowPtr to next row
v_cmp_lt_u32 s[52:53], v16, s[sgprSizeI]           // coord0 < size0
v_cmp_lt_u32 s[56:57], v17, s[sgprSizeJ]           // coord1 < size1
s_and_b64 s[56:57], s[52:53], s[56:57]             // in0 && in1
_v_add_lshl_u32 v54, v18, v16, 0x1                 // scaleToBpe: accumulate d0 lower and *= bpe into Cin addr
v_cndmask_b32 v54, -1, v54, s[56:57]               // LDC clip if OOB. offset
_buffer_load_d16_b16 v55, v54, s[sgprSrdC:sgprSrdC+3], 0, offen offset:0 // load C for beta calc
_v_add_lshl_u32 v54, v19, v16, 0x1                 // scaleToBpe: accumulate d0 lower and *= bpe into Cin addr
v_cndmask_b32 v54, -1, v54, s[56:57]               // LDD clip if OOB. offset
/* (d1,vc1,d0,vc0)=(2,2,0,0) */
_v_add_co_u32 v17, vcc, v17, 1                     // coord1.1: coord1Vgpr += d1*sg1*VW + vc1

/* Fix for UseInitialStridesCD, emitAddressSetupCode */
_v_add_u32 v18, v18, s[sgprStrideC1J]              // ROWINC- Move cinRowPtr to next row
_v_add_u32 v19, v19, s[sgprStrideD1J]              // Move coutRowPtr to next row
	;; [unrolled: 14-line block ×3, first 2 shown]
v_cmp_lt_u32 s[52:53], v16, s[sgprSizeI]           // coord0 < size0
v_cmp_lt_u32 s[56:57], v17, s[sgprSizeJ]           // coord1 < size1
s_and_b64 s[56:57], s[52:53], s[56:57]             // in0 && in1
_v_add_lshl_u32 v60, v18, v16, 0x1                 // scaleToBpe: accumulate d0 lower and *= bpe into Cin addr
v_cndmask_b32 v60, -1, v60, s[56:57]               // LDC clip if OOB. offset
_buffer_load_d16_b16 v61, v60, s[sgprSrdC:sgprSrdC+3], 0, offen offset:0 // load C for beta calc
_v_add_lshl_u32 v60, v19, v16, 0x1                 // scaleToBpe: accumulate d0 lower and *= bpe into Cin addr
v_cndmask_b32 v60, -1, v60, s[56:57]               // LDD clip if OOB. offset

/* rC *= alpha batchElements=[(0, 0, 0, 0), (0, 0, 1, 0), (0, 0, 2, 0), (0, 0, 3, 0), (1, 0, 0, 0), (1, 0, 1, 0), (1, 0, 2, 0), (1, 0, 3, 0), (2, 0, 0, 0), (2, 0, 1, 0), (2, 0, 2, 0), (2, 0, 3, 0)] */
v_mul_f32 v[vgprValuC+24], s[sgprAlpha], v[vgprValuC+0] // Multiply MI out reg with alpha
v_mul_f32 v[vgprValuC+27], s[sgprAlpha], v[vgprValuC+1] // Multiply MI out reg with alpha
	;; [unrolled: 1-line block ×12, first 2 shown]
s_waitcnt vmcnt(0)                                 // wait C

/* apply mask, calc new C and issue writes */
v_fma_mix_f32 v[vgprValuC+24], s[sgprBeta], v23, v[vgprValuC+24], op_sel:[0,0,0] op_sel_hi:[0,1,0] // //C*=beta
v_cvt_f16_f32 v[vgprValuC+24], v[vgprValuC+24]     // convert C to fp16
_buffer_store_b16 v24, v22, s[sgprSrdD:sgprSrdD+3], 0, offen, offset:0 // store D
v_fma_mix_f32 v[vgprValuC+27], s[sgprBeta], v26, v[vgprValuC+27], op_sel:[0,0,0] op_sel_hi:[0,1,0] // //C*=beta
v_cvt_f16_f32 v[vgprValuC+27], v[vgprValuC+27]     // convert C to fp16
_buffer_store_b16 v27, v25, s[sgprSrdD:sgprSrdD+3], 0, offen, offset:0 // store D
	;; [unrolled: 3-line block ×12, first 2 shown]
s_nop 0                                            // 1 wait state required when next inst writes vgprs held by previous dwordx4 store inst
/* optSingleColVgpr=0 optSharedColVgpr=0 optSGPRUsage=BufferLoad_Edge_Mask optSrdIncForRow=0 */

/******************************************/
/* Global Write Alpha Beta Edge Batch #1 (d1,d0,vc1,vc0) = */
/*    (3,0,0,0:vw1); (3,0,1,0:vw1); (3,0,2,0:vw1); (3,0,3,0:vw1) */
/******************************************/

/* calc coords, apply mask, and issue loads (if necessary) */
/* (d1,vc1,d0,vc0)=(3,0,0,0) */
_v_add_co_u32 v17, vcc, v17, 5                     // coord1.1: coord1Vgpr += d1*sg1*VW + vc1

/* Fix for UseInitialStridesCD, emitAddressSetupCode */
s_mul_i32 s52, s[sgprStrideC1J], 5                 // scale stride
_v_add_u32 v18, v18, s52                           // ROWINC- Move cinRowPtr to next row
s_mul_i32 s52, s[sgprStrideD1J], 5                 // scale stride
_v_add_u32 v19, v19, s52                           // Move coutRowPtr to next row
v_cmp_lt_u32 s[52:53], v16, s[sgprSizeI]           // coord0 < size0
v_cmp_lt_u32 s[56:57], v17, s[sgprSizeJ]           // coord1 < size1
s_and_b64 s[56:57], s[52:53], s[56:57]             // in0 && in1
_v_add_lshl_u32 v22, v18, v16, 0x1                 // scaleToBpe: accumulate d0 lower and *= bpe into Cin addr
v_cndmask_b32 v22, -1, v22, s[56:57]               // LDC clip if OOB. offset
_buffer_load_d16_b16 v23, v22, s[sgprSrdC:sgprSrdC+3], 0, offen offset:0 // load C for beta calc
_v_add_lshl_u32 v22, v19, v16, 0x1                 // scaleToBpe: accumulate d0 lower and *= bpe into Cin addr
v_cndmask_b32 v22, -1, v22, s[56:57]               // LDD clip if OOB. offset
/* (d1,vc1,d0,vc0)=(3,1,0,0) */
_v_add_co_u32 v17, vcc, v17, 1                     // coord1.1: coord1Vgpr += d1*sg1*VW + vc1

/* Fix for UseInitialStridesCD, emitAddressSetupCode */
_v_add_u32 v18, v18, s[sgprStrideC1J]              // ROWINC- Move cinRowPtr to next row
_v_add_u32 v19, v19, s[sgprStrideD1J]              // Move coutRowPtr to next row
v_cmp_lt_u32 s[52:53], v16, s[sgprSizeI]           // coord0 < size0
v_cmp_lt_u32 s[56:57], v17, s[sgprSizeJ]           // coord1 < size1
s_and_b64 s[56:57], s[52:53], s[56:57]             // in0 && in1
_v_add_lshl_u32 v25, v18, v16, 0x1                 // scaleToBpe: accumulate d0 lower and *= bpe into Cin addr
v_cndmask_b32 v25, -1, v25, s[56:57]               // LDC clip if OOB. offset
_buffer_load_d16_b16 v26, v25, s[sgprSrdC:sgprSrdC+3], 0, offen offset:0 // load C for beta calc
_v_add_lshl_u32 v25, v19, v16, 0x1                 // scaleToBpe: accumulate d0 lower and *= bpe into Cin addr
v_cndmask_b32 v25, -1, v25, s[56:57]               // LDD clip if OOB. offset
/* (d1,vc1,d0,vc0)=(3,2,0,0) */
_v_add_co_u32 v17, vcc, v17, 1                     // coord1.1: coord1Vgpr += d1*sg1*VW + vc1

/* Fix for UseInitialStridesCD, emitAddressSetupCode */
_v_add_u32 v18, v18, s[sgprStrideC1J]              // ROWINC- Move cinRowPtr to next row
_v_add_u32 v19, v19, s[sgprStrideD1J]              // Move coutRowPtr to next row
	;; [unrolled: 14-line block ×3, first 2 shown]
v_cmp_lt_u32 s[52:53], v16, s[sgprSizeI]           // coord0 < size0
v_cmp_lt_u32 s[56:57], v17, s[sgprSizeJ]           // coord1 < size1
s_and_b64 s[56:57], s[52:53], s[56:57]             // in0 && in1
_v_add_lshl_u32 v31, v18, v16, 0x1                 // scaleToBpe: accumulate d0 lower and *= bpe into Cin addr
v_cndmask_b32 v31, -1, v31, s[56:57]               // LDC clip if OOB. offset
_buffer_load_d16_b16 v37, v31, s[sgprSrdC:sgprSrdC+3], 0, offen offset:0 // load C for beta calc
_v_add_lshl_u32 v31, v19, v16, 0x1                 // scaleToBpe: accumulate d0 lower and *= bpe into Cin addr
v_cndmask_b32 v31, -1, v31, s[56:57]               // LDD clip if OOB. offset

/* rC *= alpha batchElements=[(3, 0, 0, 0), (3, 0, 1, 0), (3, 0, 2, 0), (3, 0, 3, 0)] */
v_mul_f32 v[vgprValuC+24], s[sgprAlpha], v[vgprValuC+12] // Multiply MI out reg with alpha
v_mul_f32 v[vgprValuC+27], s[sgprAlpha], v[vgprValuC+13] // Multiply MI out reg with alpha
	;; [unrolled: 1-line block ×4, first 2 shown]
s_waitcnt vmcnt(0)                                 // wait C

/* apply mask, calc new C and issue writes */
v_fma_mix_f32 v[vgprValuC+24], s[sgprBeta], v23, v[vgprValuC+24], op_sel:[0,0,0] op_sel_hi:[0,1,0] // //C*=beta
v_cvt_f16_f32 v[vgprValuC+24], v[vgprValuC+24]     // convert C to fp16
_buffer_store_b16 v24, v22, s[sgprSrdD:sgprSrdD+3], 0, offen, offset:0 // store D
v_fma_mix_f32 v[vgprValuC+27], s[sgprBeta], v26, v[vgprValuC+27], op_sel:[0,0,0] op_sel_hi:[0,1,0] // //C*=beta
v_cvt_f16_f32 v[vgprValuC+27], v[vgprValuC+27]     // convert C to fp16
_buffer_store_b16 v27, v25, s[sgprSrdD:sgprSrdD+3], 0, offen, offset:0 // store D
	;; [unrolled: 3-line block ×4, first 2 shown]
s_nop 0                                            // 1 wait state required when next inst writes vgprs held by previous dwordx4 store inst
s_branch label_GW_End_91                           // jump to end
label_GW_End_91:

label_0096:  /// KernelEnd
s_endpgm                                           // Kernel End

